;; amdgpu-corpus repo=ROCm/rocFFT kind=compiled arch=gfx950 opt=O3
	.text
	.amdgcn_target "amdgcn-amd-amdhsa--gfx950"
	.amdhsa_code_object_version 6
	.protected	fft_rtc_back_len1904_factors_17_2_2_7_4_wgs_119_tpt_119_halfLds_half_op_CI_CI_unitstride_sbrr_R2C_dirReg ; -- Begin function fft_rtc_back_len1904_factors_17_2_2_7_4_wgs_119_tpt_119_halfLds_half_op_CI_CI_unitstride_sbrr_R2C_dirReg
	.globl	fft_rtc_back_len1904_factors_17_2_2_7_4_wgs_119_tpt_119_halfLds_half_op_CI_CI_unitstride_sbrr_R2C_dirReg
	.p2align	8
	.type	fft_rtc_back_len1904_factors_17_2_2_7_4_wgs_119_tpt_119_halfLds_half_op_CI_CI_unitstride_sbrr_R2C_dirReg,@function
fft_rtc_back_len1904_factors_17_2_2_7_4_wgs_119_tpt_119_halfLds_half_op_CI_CI_unitstride_sbrr_R2C_dirReg: ; @fft_rtc_back_len1904_factors_17_2_2_7_4_wgs_119_tpt_119_halfLds_half_op_CI_CI_unitstride_sbrr_R2C_dirReg
; %bb.0:
	s_load_dwordx4 s[4:7], s[0:1], 0x58
	s_load_dwordx4 s[8:11], s[0:1], 0x0
	;; [unrolled: 1-line block ×3, first 2 shown]
	v_mul_u32_u24_e32 v1, 0x227, v0
	v_add_u32_sdwa v10, s2, v1 dst_sel:DWORD dst_unused:UNUSED_PAD src0_sel:DWORD src1_sel:WORD_1
	v_mov_b32_e32 v6, 0
	s_waitcnt lgkmcnt(0)
	v_cmp_lt_u64_e64 s[2:3], s[10:11], 2
	v_mov_b32_e32 v11, v6
	s_and_b64 vcc, exec, s[2:3]
	v_mov_b64_e32 v[8:9], 0
	s_cbranch_vccnz .LBB0_8
; %bb.1:
	s_load_dwordx2 s[2:3], s[0:1], 0x10
	s_add_u32 s16, s14, 8
	s_addc_u32 s17, s15, 0
	s_add_u32 s18, s12, 8
	s_addc_u32 s19, s13, 0
	s_waitcnt lgkmcnt(0)
	s_add_u32 s20, s2, 8
	v_mov_b64_e32 v[8:9], 0
	s_addc_u32 s21, s3, 0
	s_mov_b64 s[22:23], 1
	v_mov_b64_e32 v[2:3], v[8:9]
.LBB0_2:                                ; =>This Inner Loop Header: Depth=1
	s_load_dwordx2 s[24:25], s[20:21], 0x0
                                        ; implicit-def: $vgpr4_vgpr5
	s_waitcnt lgkmcnt(0)
	v_or_b32_e32 v7, s25, v11
	v_cmp_ne_u64_e32 vcc, 0, v[6:7]
	s_and_saveexec_b64 s[2:3], vcc
	s_xor_b64 s[26:27], exec, s[2:3]
	s_cbranch_execz .LBB0_4
; %bb.3:                                ;   in Loop: Header=BB0_2 Depth=1
	v_cvt_f32_u32_e32 v1, s24
	v_cvt_f32_u32_e32 v4, s25
	s_sub_u32 s2, 0, s24
	s_subb_u32 s3, 0, s25
	v_fmac_f32_e32 v1, 0x4f800000, v4
	v_rcp_f32_e32 v1, v1
	s_nop 0
	v_mul_f32_e32 v1, 0x5f7ffffc, v1
	v_mul_f32_e32 v4, 0x2f800000, v1
	v_trunc_f32_e32 v4, v4
	v_fmac_f32_e32 v1, 0xcf800000, v4
	v_cvt_u32_f32_e32 v7, v4
	v_cvt_u32_f32_e32 v1, v1
	v_mul_lo_u32 v4, s2, v7
	v_mul_hi_u32 v12, s2, v1
	v_mul_lo_u32 v5, s3, v1
	v_add_u32_e32 v12, v12, v4
	v_mul_lo_u32 v14, s2, v1
	v_add_u32_e32 v15, v12, v5
	v_mul_hi_u32 v4, v1, v14
	v_mul_hi_u32 v13, v1, v15
	v_mul_lo_u32 v12, v1, v15
	v_mov_b32_e32 v5, v6
	v_lshl_add_u64 v[4:5], v[4:5], 0, v[12:13]
	v_mul_hi_u32 v13, v7, v14
	v_mul_lo_u32 v14, v7, v14
	v_add_co_u32_e32 v4, vcc, v4, v14
	v_mul_hi_u32 v12, v7, v15
	s_nop 0
	v_addc_co_u32_e32 v4, vcc, v5, v13, vcc
	v_mov_b32_e32 v5, v6
	s_nop 0
	v_addc_co_u32_e32 v13, vcc, 0, v12, vcc
	v_mul_lo_u32 v12, v7, v15
	v_lshl_add_u64 v[4:5], v[4:5], 0, v[12:13]
	v_add_co_u32_e32 v1, vcc, v1, v4
	v_mul_lo_u32 v12, s2, v1
	s_nop 0
	v_addc_co_u32_e32 v7, vcc, v7, v5, vcc
	v_mul_lo_u32 v4, s2, v7
	v_mul_hi_u32 v5, s2, v1
	v_add_u32_e32 v4, v5, v4
	v_mul_lo_u32 v5, s3, v1
	v_add_u32_e32 v14, v4, v5
	v_mul_hi_u32 v16, v7, v12
	v_mul_lo_u32 v17, v7, v12
	v_mul_hi_u32 v5, v1, v14
	v_mul_lo_u32 v4, v1, v14
	v_mul_hi_u32 v12, v1, v12
	v_mov_b32_e32 v13, v6
	v_lshl_add_u64 v[4:5], v[12:13], 0, v[4:5]
	v_add_co_u32_e32 v4, vcc, v4, v17
	v_mul_hi_u32 v15, v7, v14
	s_nop 0
	v_addc_co_u32_e32 v4, vcc, v5, v16, vcc
	v_mul_lo_u32 v12, v7, v14
	s_nop 0
	v_addc_co_u32_e32 v13, vcc, 0, v15, vcc
	v_mov_b32_e32 v5, v6
	v_lshl_add_u64 v[4:5], v[4:5], 0, v[12:13]
	v_add_co_u32_e32 v1, vcc, v1, v4
	v_mul_hi_u32 v12, v10, v1
	s_nop 0
	v_addc_co_u32_e32 v7, vcc, v7, v5, vcc
	v_mad_u64_u32 v[4:5], s[2:3], v10, v7, 0
	v_mov_b32_e32 v13, v6
	v_lshl_add_u64 v[4:5], v[12:13], 0, v[4:5]
	v_mad_u64_u32 v[14:15], s[2:3], v11, v1, 0
	v_add_co_u32_e32 v1, vcc, v4, v14
	v_mad_u64_u32 v[12:13], s[2:3], v11, v7, 0
	s_nop 0
	v_addc_co_u32_e32 v4, vcc, v5, v15, vcc
	v_mov_b32_e32 v5, v6
	s_nop 0
	v_addc_co_u32_e32 v13, vcc, 0, v13, vcc
	v_lshl_add_u64 v[4:5], v[4:5], 0, v[12:13]
	v_mul_lo_u32 v1, s25, v4
	v_mul_lo_u32 v7, s24, v5
	v_mad_u64_u32 v[12:13], s[2:3], s24, v4, 0
	v_add3_u32 v1, v13, v7, v1
	v_sub_u32_e32 v7, v11, v1
	v_mov_b32_e32 v13, s25
	v_sub_co_u32_e32 v16, vcc, v10, v12
	v_lshl_add_u64 v[14:15], v[4:5], 0, 1
	s_nop 0
	v_subb_co_u32_e64 v7, s[2:3], v7, v13, vcc
	v_subrev_co_u32_e64 v12, s[2:3], s24, v16
	v_subb_co_u32_e32 v1, vcc, v11, v1, vcc
	s_nop 0
	v_subbrev_co_u32_e64 v7, s[2:3], 0, v7, s[2:3]
	v_cmp_le_u32_e64 s[2:3], s25, v7
	v_cmp_le_u32_e32 vcc, s25, v1
	s_nop 0
	v_cndmask_b32_e64 v13, 0, -1, s[2:3]
	v_cmp_le_u32_e64 s[2:3], s24, v12
	s_nop 1
	v_cndmask_b32_e64 v12, 0, -1, s[2:3]
	v_cmp_eq_u32_e64 s[2:3], s25, v7
	s_nop 1
	v_cndmask_b32_e64 v7, v13, v12, s[2:3]
	v_lshl_add_u64 v[12:13], v[4:5], 0, 2
	v_cmp_ne_u32_e64 s[2:3], 0, v7
	s_nop 1
	v_cndmask_b32_e64 v7, v15, v13, s[2:3]
	v_cndmask_b32_e64 v13, 0, -1, vcc
	v_cmp_le_u32_e32 vcc, s24, v16
	s_nop 1
	v_cndmask_b32_e64 v15, 0, -1, vcc
	v_cmp_eq_u32_e32 vcc, s25, v1
	s_nop 1
	v_cndmask_b32_e32 v1, v13, v15, vcc
	v_cmp_ne_u32_e32 vcc, 0, v1
	v_cndmask_b32_e64 v1, v14, v12, s[2:3]
	s_nop 0
	v_cndmask_b32_e32 v5, v5, v7, vcc
	v_cndmask_b32_e32 v4, v4, v1, vcc
.LBB0_4:                                ;   in Loop: Header=BB0_2 Depth=1
	s_andn2_saveexec_b64 s[2:3], s[26:27]
	s_cbranch_execz .LBB0_6
; %bb.5:                                ;   in Loop: Header=BB0_2 Depth=1
	v_cvt_f32_u32_e32 v1, s24
	s_sub_i32 s26, 0, s24
	v_rcp_iflag_f32_e32 v1, v1
	s_nop 0
	v_mul_f32_e32 v1, 0x4f7ffffe, v1
	v_cvt_u32_f32_e32 v1, v1
	v_mul_lo_u32 v4, s26, v1
	v_mul_hi_u32 v4, v1, v4
	v_add_u32_e32 v1, v1, v4
	v_mul_hi_u32 v1, v10, v1
	v_mul_lo_u32 v4, v1, s24
	v_sub_u32_e32 v4, v10, v4
	v_add_u32_e32 v5, 1, v1
	v_subrev_u32_e32 v7, s24, v4
	v_cmp_le_u32_e32 vcc, s24, v4
	s_nop 1
	v_cndmask_b32_e32 v4, v4, v7, vcc
	v_cndmask_b32_e32 v1, v1, v5, vcc
	v_add_u32_e32 v5, 1, v1
	v_cmp_le_u32_e32 vcc, s24, v4
	s_nop 1
	v_cndmask_b32_e32 v4, v1, v5, vcc
	v_mov_b32_e32 v5, v6
.LBB0_6:                                ;   in Loop: Header=BB0_2 Depth=1
	s_or_b64 exec, exec, s[2:3]
	v_mad_u64_u32 v[12:13], s[2:3], v4, s24, 0
	s_load_dwordx2 s[2:3], s[18:19], 0x0
	v_mul_lo_u32 v1, v5, s24
	v_mul_lo_u32 v7, v4, s25
	s_load_dwordx2 s[24:25], s[16:17], 0x0
	s_add_u32 s22, s22, 1
	v_add3_u32 v1, v13, v7, v1
	v_sub_co_u32_e32 v7, vcc, v10, v12
	s_addc_u32 s23, s23, 0
	s_nop 0
	v_subb_co_u32_e32 v1, vcc, v11, v1, vcc
	s_add_u32 s16, s16, 8
	s_waitcnt lgkmcnt(0)
	v_mul_lo_u32 v10, s2, v1
	v_mul_lo_u32 v11, s3, v7
	v_mad_u64_u32 v[8:9], s[2:3], s2, v7, v[8:9]
	s_addc_u32 s17, s17, 0
	v_add3_u32 v9, v11, v9, v10
	v_mul_lo_u32 v1, s24, v1
	v_mul_lo_u32 v10, s25, v7
	v_mad_u64_u32 v[2:3], s[2:3], s24, v7, v[2:3]
	s_add_u32 s18, s18, 8
	v_add3_u32 v3, v10, v3, v1
	s_addc_u32 s19, s19, 0
	v_mov_b64_e32 v[10:11], s[10:11]
	s_add_u32 s20, s20, 8
	v_cmp_ge_u64_e32 vcc, s[22:23], v[10:11]
	s_addc_u32 s21, s21, 0
	s_cbranch_vccnz .LBB0_9
; %bb.7:                                ;   in Loop: Header=BB0_2 Depth=1
	v_mov_b64_e32 v[10:11], v[4:5]
	s_branch .LBB0_2
.LBB0_8:
	v_mov_b64_e32 v[2:3], v[8:9]
	v_mov_b64_e32 v[4:5], v[10:11]
.LBB0_9:
	s_load_dwordx2 s[0:1], s[0:1], 0x28
	s_lshl_b64 s[16:17], s[10:11], 3
	s_add_u32 s2, s14, s16
	s_addc_u32 s3, s15, s17
                                        ; implicit-def: $vgpr6
	s_waitcnt lgkmcnt(0)
	v_cmp_gt_u64_e32 vcc, s[0:1], v[4:5]
	v_cmp_le_u64_e64 s[0:1], s[0:1], v[4:5]
	s_and_saveexec_b64 s[10:11], s[0:1]
	s_xor_b64 s[0:1], exec, s[10:11]
; %bb.10:
	s_mov_b32 s10, 0x226b903
	v_mul_hi_u32 v1, v0, s10
	v_mul_u32_u24_e32 v1, 0x77, v1
	v_sub_u32_e32 v6, v0, v1
                                        ; implicit-def: $vgpr0
                                        ; implicit-def: $vgpr8_vgpr9
; %bb.11:
	s_andn2_saveexec_b64 s[10:11], s[0:1]
	s_cbranch_execz .LBB0_13
; %bb.12:
	s_add_u32 s0, s12, s16
	s_addc_u32 s1, s13, s17
	s_load_dwordx2 s[0:1], s[0:1], 0x0
	s_mov_b32 s12, 0x226b903
	s_waitcnt lgkmcnt(0)
	v_mul_lo_u32 v1, s1, v4
	v_mul_lo_u32 v6, s0, v5
	v_mad_u64_u32 v[10:11], s[0:1], s0, v4, 0
	v_add3_u32 v11, v11, v6, v1
	v_mul_hi_u32 v1, v0, s12
	v_mul_u32_u24_e32 v1, 0x77, v1
	v_sub_u32_e32 v6, v0, v1
	v_lshl_add_u64 v[0:1], v[10:11], 2, s[4:5]
	v_lshl_add_u64 v[0:1], v[8:9], 2, v[0:1]
	v_lshlrev_b32_e32 v8, 2, v6
	v_mov_b32_e32 v9, 0
	v_lshl_add_u64 v[0:1], v[0:1], 0, v[8:9]
	s_movk_i32 s0, 0x1000
	v_add_co_u32_e64 v10, s[0:1], s0, v0
	global_load_dword v7, v[0:1], off
	global_load_dword v9, v[0:1], off offset:476
	global_load_dword v12, v[0:1], off offset:952
	;; [unrolled: 1-line block ×7, first 2 shown]
	v_addc_co_u32_e64 v11, s[0:1], 0, v1, s[0:1]
	global_load_dword v18, v[0:1], off offset:3808
	global_load_dword v19, v[10:11], off offset:188
	;; [unrolled: 1-line block ×8, first 2 shown]
	v_add_u32_e32 v0, 0, v8
	v_add_u32_e32 v1, 0x200, v0
	;; [unrolled: 1-line block ×8, first 2 shown]
	s_waitcnt vmcnt(14)
	ds_write2_b32 v0, v7, v9 offset1:119
	s_waitcnt vmcnt(12)
	ds_write2_b32 v1, v12, v13 offset0:110 offset1:229
	s_waitcnt vmcnt(10)
	ds_write2_b32 v8, v14, v15 offset0:92 offset1:211
	;; [unrolled: 2-line block ×7, first 2 shown]
.LBB0_13:
	s_or_b64 exec, exec, s[10:11]
	v_lshl_add_u32 v30, v6, 2, 0
	s_waitcnt lgkmcnt(0)
	s_barrier
	ds_read2_b32 v[0:1], v30 offset1:112
	ds_read_b32 v23, v30 offset:7168
	v_add_u32_e32 v7, 0x200, v30
	v_add_u32_e32 v28, 0x1800, v30
	ds_read2_b32 v[20:21], v7 offset0:96 offset1:208
	ds_read2_b32 v[8:9], v28 offset0:32 offset1:144
	v_add_u32_e32 v7, 0x600, v30
	v_add_u32_e32 v26, 0x1400, v30
	ds_read2_b32 v[18:19], v7 offset0:64 offset1:176
	ds_read2_b32 v[12:13], v26 offset0:64 offset1:176
	;; [unrolled: 4-line block ×3, first 2 shown]
	s_waitcnt lgkmcnt(6)
	v_pk_add_f16 v63, v1, v23 neg_lo:[0,1] neg_hi:[0,1]
	s_mov_b32 s19, 0xb5c8
	v_pk_add_f16 v25, v23, v1
	s_waitcnt lgkmcnt(4)
	v_pk_add_f16 v62, v20, v9 neg_lo:[0,1] neg_hi:[0,1]
	v_pk_mul_f16 v7, v63, s19 op_sel_hi:[1,0]
	s_movk_i32 s10, 0x3b76
	s_mov_b32 s24, 0xb964
	v_pk_add_f16 v27, v9, v20
	v_pk_add_f16 v61, v21, v8 neg_lo:[0,1] neg_hi:[0,1]
	v_pk_fma_f16 v37, v25, s10, v7 op_sel:[0,0,1] op_sel_hi:[1,0,0] neg_lo:[0,0,1] neg_hi:[0,0,1]
	v_pk_fma_f16 v38, v25, s10, v7 op_sel:[0,0,1] op_sel_hi:[1,0,0]
	v_pk_mul_f16 v7, v62, s24 op_sel_hi:[1,0]
	s_movk_i32 s11, 0x39e9
	s_mov_b32 s25, 0xbb29
	v_pk_add_f16 v29, v8, v21
	s_waitcnt lgkmcnt(2)
	v_pk_add_f16 v60, v18, v13 neg_lo:[0,1] neg_hi:[0,1]
	v_pk_fma_f16 v39, v27, s11, v7 op_sel:[0,0,1] op_sel_hi:[1,0,0] neg_lo:[0,0,1] neg_hi:[0,0,1]
	v_pk_fma_f16 v40, v27, s11, v7 op_sel:[0,0,1] op_sel_hi:[1,0,0]
	v_pk_mul_f16 v7, v61, s25 op_sel_hi:[1,0]
	s_movk_i32 s12, 0x3722
	s_mov_b32 s22, 0xbbf7
	v_pk_add_f16 v32, v13, v18
	v_pk_add_f16 v59, v19, v12 neg_lo:[0,1] neg_hi:[0,1]
	v_pk_fma_f16 v41, v29, s12, v7 op_sel:[0,0,1] op_sel_hi:[1,0,0] neg_lo:[0,0,1] neg_hi:[0,0,1]
	v_pk_fma_f16 v42, v29, s12, v7 op_sel:[0,0,1] op_sel_hi:[1,0,0]
	v_pk_mul_f16 v7, v60, s22 op_sel_hi:[1,0]
	s_movk_i32 s13, 0x2de8
	s_mov_b32 s18, 0xbbb2
	v_pk_add_f16 v33, v12, v19
	s_waitcnt lgkmcnt(0)
	v_pk_add_f16 v58, v16, v11 neg_lo:[0,1] neg_hi:[0,1]
	v_pk_fma_f16 v43, v32, s13, v7 op_sel:[0,0,1] op_sel_hi:[1,0,0] neg_lo:[0,0,1] neg_hi:[0,0,1]
	v_pk_fma_f16 v44, v32, s13, v7 op_sel:[0,0,1] op_sel_hi:[1,0,0]
	v_pk_mul_f16 v7, v59, s18 op_sel_hi:[1,0]
	s_mov_b32 s14, 0xb461
	s_mov_b32 s20, 0xba62
	v_add_u32_e32 v22, 0xc00, v30
	v_pk_add_f16 v34, v11, v16
	v_pk_add_f16 v57, v17, v10 neg_lo:[0,1] neg_hi:[0,1]
	v_pk_fma_f16 v47, v33, s14, v7 op_sel:[0,0,1] op_sel_hi:[1,0,0] neg_lo:[0,0,1] neg_hi:[0,0,1]
	v_pk_fma_f16 v48, v33, s14, v7 op_sel:[0,0,1] op_sel_hi:[1,0,0]
	v_pk_mul_f16 v7, v58, s20 op_sel_hi:[1,0]
	s_mov_b32 s15, 0xb8d2
	s_mov_b32 s21, 0xb836
	ds_read2_b32 v[14:15], v22 offset0:128 offset1:240
	v_pk_add_f16 v35, v10, v17
	v_pk_fma_f16 v49, v34, s15, v7 op_sel:[0,0,1] op_sel_hi:[1,0,0] neg_lo:[0,0,1] neg_hi:[0,0,1]
	v_pk_fma_f16 v50, v34, s15, v7 op_sel:[0,0,1] op_sel_hi:[1,0,0]
	v_pk_mul_f16 v7, v57, s21 op_sel_hi:[1,0]
	s_mov_b32 s16, 0xbacd
	v_pk_fma_f16 v51, v35, s16, v7 op_sel:[0,0,1] op_sel_hi:[1,0,0] neg_lo:[0,0,1] neg_hi:[0,0,1]
	v_pk_fma_f16 v52, v35, s16, v7 op_sel:[0,0,1] op_sel_hi:[1,0,0]
	v_add_f16_e32 v7, v0, v37
	v_add_f16_e32 v7, v39, v7
	;; [unrolled: 1-line block ×4, first 2 shown]
	s_waitcnt lgkmcnt(0)
	v_pk_add_f16 v36, v15, v14
	v_pk_add_f16 v64, v14, v15 neg_lo:[0,1] neg_hi:[0,1]
	s_mov_b32 s17, 0xbbdd
	s_mov_b32 s23, 0xb1e1
	v_add_f16_e32 v7, v47, v7
	v_pk_mul_f16 v45, v36, s17 op_sel_hi:[1,0]
	v_pk_mul_f16 v46, v64, s23 op_sel_hi:[1,0]
	v_add_f16_e32 v7, v49, v7
	v_add_f16_e32 v7, v51, v7
	v_sub_f16_sdwa v31, v45, v46 dst_sel:DWORD dst_unused:UNUSED_PAD src0_sel:DWORD src1_sel:WORD_1
	v_add_f16_e32 v7, v31, v7
	v_add_f16_sdwa v31, v0, v38 dst_sel:DWORD dst_unused:UNUSED_PAD src0_sel:WORD_1 src1_sel:WORD_1
	v_add_f16_sdwa v31, v40, v31 dst_sel:DWORD dst_unused:UNUSED_PAD src0_sel:WORD_1 src1_sel:DWORD
	v_add_f16_sdwa v31, v42, v31 dst_sel:DWORD dst_unused:UNUSED_PAD src0_sel:WORD_1 src1_sel:DWORD
	;; [unrolled: 1-line block ×6, first 2 shown]
	v_add_f16_sdwa v53, v46, v45 dst_sel:DWORD dst_unused:UNUSED_PAD src0_sel:DWORD src1_sel:WORD_1
	s_movk_i32 s0, 0x70
	v_add_f16_e32 v31, v53, v31
	v_cmp_gt_u32_e64 s[0:1], s0, v6
	s_barrier
	s_and_saveexec_b64 s[4:5], s[0:1]
	s_cbranch_execz .LBB0_15
; %bb.14:
	v_pk_add_f16 v1, v0, v1
	v_mul_f16_e32 v53, 0xb964, v63
	v_lshrrev_b32_e32 v54, 16, v25
	v_pk_add_f16 v1, v1, v20
	v_fma_f16 v55, v54, s11, v53
	v_pk_add_f16 v1, v1, v21
	v_add_f16_sdwa v65, v0, v55 dst_sel:DWORD dst_unused:UNUSED_PAD src0_sel:WORD_1 src1_sel:DWORD
	v_mul_f16_e32 v55, 0xbbf7, v62
	v_lshrrev_b32_e32 v56, 16, v27
	v_pk_add_f16 v1, v1, v18
	v_fma_f16 v66, v56, s13, v55
	v_mul_f16_e32 v20, 0xba62, v61
	v_lshrrev_b32_e32 v21, 16, v29
	v_pk_add_f16 v1, v1, v19
	v_add_f16_e32 v65, v66, v65
	v_fma_f16 v66, v21, s15, v20
	v_mul_f16_e32 v18, 0xb1e1, v60
	v_lshrrev_b32_e32 v19, 16, v32
	v_pk_add_f16 v1, v1, v16
	v_add_f16_e32 v65, v66, v65
	v_fma_f16 v66, v19, s17, v18
	v_pk_add_f16 v1, v1, v17
	v_mul_f16_e32 v16, 0x3836, v59
	v_lshrrev_b32_e32 v17, 16, v33
	v_add_f16_e32 v65, v66, v65
	v_fma_f16 v66, v17, s16, v16
	v_add_f16_e32 v65, v66, v65
	v_pk_add_f16 v1, v1, v14
	v_mul_f16_e32 v66, 0x3bb2, v58
	v_lshrrev_b32_e32 v67, 16, v34
	v_pk_add_f16 v15, v1, v15
	v_fma_f16 v1, v67, s14, v66
	v_add_f16_e32 v1, v1, v65
	v_mul_f16_e32 v65, 0x3b29, v57
	v_lshrrev_b32_e32 v68, 16, v35
	v_fma_f16 v14, v68, s12, v65
	v_mul_f16_e32 v69, 0x35c8, v64
	v_lshrrev_b32_e32 v70, 16, v36
	v_add_f16_e32 v1, v14, v1
	v_fma_f16 v14, v70, s10, v69
	v_mul_f16_sdwa v71, v63, s24 dst_sel:DWORD dst_unused:UNUSED_PAD src0_sel:WORD_1 src1_sel:DWORD
	v_add_f16_e32 v1, v14, v1
	v_fma_f16 v14, v25, s11, -v71
	v_mul_f16_sdwa v72, v62, s22 dst_sel:DWORD dst_unused:UNUSED_PAD src0_sel:WORD_1 src1_sel:DWORD
	v_add_f16_e32 v14, v0, v14
	v_fma_f16 v73, v27, s13, -v72
	v_add_f16_e32 v14, v73, v14
	v_mul_f16_sdwa v73, v61, s20 dst_sel:DWORD dst_unused:UNUSED_PAD src0_sel:WORD_1 src1_sel:DWORD
	v_fma_f16 v74, v29, s15, -v73
	v_add_f16_e32 v14, v74, v14
	v_mul_f16_sdwa v74, v60, s23 dst_sel:DWORD dst_unused:UNUSED_PAD src0_sel:WORD_1 src1_sel:DWORD
	v_fma_f16 v75, v32, s17, -v74
	s_movk_i32 s27, 0x3836
	v_add_f16_e32 v14, v75, v14
	v_mul_f16_sdwa v75, v59, s27 dst_sel:DWORD dst_unused:UNUSED_PAD src0_sel:WORD_1 src1_sel:DWORD
	v_fma_f16 v76, v33, s16, -v75
	s_movk_i32 s28, 0x3bb2
	;; [unrolled: 4-line block ×4, first 2 shown]
	v_add_f16_e32 v14, v78, v14
	v_mul_f16_sdwa v78, v64, s1 dst_sel:DWORD dst_unused:UNUSED_PAD src0_sel:WORD_1 src1_sel:DWORD
	v_fma_f16 v79, v36, s10, -v78
	v_add_f16_e32 v14, v79, v14
	v_mul_f16_e32 v79, 0xbb29, v63
	v_fma_f16 v80, v54, s12, v79
	v_mul_f16_e32 v81, 0xba62, v62
	v_add_f16_sdwa v80, v0, v80 dst_sel:DWORD dst_unused:UNUSED_PAD src0_sel:WORD_1 src1_sel:DWORD
	v_fma_f16 v82, v56, s15, v81
	v_add_f16_e32 v80, v82, v80
	v_mul_f16_e32 v82, 0x31e1, v61
	v_fma_f16 v83, v21, s17, v82
	v_add_f16_e32 v80, v83, v80
	v_mul_f16_e32 v83, 0x3bb2, v60
	;; [unrolled: 3-line block ×6, first 2 shown]
	v_fma_f16 v88, v70, s16, v87
	v_add_f16_e32 v80, v88, v80
	v_mul_f16_sdwa v88, v63, s25 dst_sel:DWORD dst_unused:UNUSED_PAD src0_sel:WORD_1 src1_sel:DWORD
	v_fma_f16 v89, v25, s12, -v88
	v_mul_f16_sdwa v90, v62, s20 dst_sel:DWORD dst_unused:UNUSED_PAD src0_sel:WORD_1 src1_sel:DWORD
	v_add_f16_e32 v89, v0, v89
	v_fma_f16 v91, v27, s15, -v90
	s_movk_i32 s26, 0x31e1
	v_add_f16_e32 v89, v91, v89
	v_mul_f16_sdwa v91, v61, s26 dst_sel:DWORD dst_unused:UNUSED_PAD src0_sel:WORD_1 src1_sel:DWORD
	v_fma_f16 v92, v29, s17, -v91
	v_add_f16_e32 v89, v92, v89
	v_mul_f16_sdwa v92, v60, s28 dst_sel:DWORD dst_unused:UNUSED_PAD src0_sel:WORD_1 src1_sel:DWORD
	v_fma_f16 v93, v32, s14, -v92
	s_movk_i32 s26, 0x3964
	v_add_f16_e32 v89, v93, v89
	v_mul_f16_sdwa v93, v59, s26 dst_sel:DWORD dst_unused:UNUSED_PAD src0_sel:WORD_1 src1_sel:DWORD
	v_fma_f16 v94, v33, s11, -v93
	v_add_f16_e32 v89, v94, v89
	v_mul_f16_sdwa v94, v58, s19 dst_sel:DWORD dst_unused:UNUSED_PAD src0_sel:WORD_1 src1_sel:DWORD
	v_fma_f16 v95, v34, s10, -v94
	;; [unrolled: 3-line block ×4, first 2 shown]
	v_add_f16_e32 v89, v97, v89
	v_mul_f16_e32 v97, 0xbbf7, v63
	v_fma_f16 v98, v54, s13, v97
	v_mul_f16_e32 v99, 0xb1e1, v62
	v_add_f16_sdwa v98, v0, v98 dst_sel:DWORD dst_unused:UNUSED_PAD src0_sel:WORD_1 src1_sel:DWORD
	v_fma_f16 v100, v56, s17, v99
	v_add_f16_e32 v98, v100, v98
	v_mul_f16_e32 v100, 0x3bb2, v61
	v_fma_f16 v101, v21, s14, v100
	v_add_f16_e32 v98, v101, v98
	v_mul_f16_e32 v101, 0x35c8, v60
	v_fma_f16 v102, v19, s10, v101
	v_add_f16_e32 v98, v102, v98
	v_mul_f16_e32 v102, 0xbb29, v59
	v_fma_f16 v103, v17, s12, v102
	v_add_f16_e32 v98, v103, v98
	v_mul_f16_e32 v103, 0xb836, v58
	v_fma_f16 v104, v67, s16, v103
	v_add_f16_e32 v98, v104, v98
	v_mul_f16_e32 v104, 0x3a62, v57
	v_fma_f16 v105, v68, s15, v104
	v_add_f16_e32 v98, v105, v98
	v_mul_f16_e32 v105, 0x3964, v64
	v_fma_f16 v106, v70, s11, v105
	v_add_f16_e32 v98, v106, v98
	v_mul_f16_sdwa v106, v63, s22 dst_sel:DWORD dst_unused:UNUSED_PAD src0_sel:WORD_1 src1_sel:DWORD
	v_fma_f16 v107, v25, s13, -v106
	v_mul_f16_sdwa v108, v62, s23 dst_sel:DWORD dst_unused:UNUSED_PAD src0_sel:WORD_1 src1_sel:DWORD
	v_add_f16_e32 v107, v0, v107
	v_fma_f16 v109, v27, s17, -v108
	v_add_f16_e32 v107, v109, v107
	v_mul_f16_sdwa v109, v61, s28 dst_sel:DWORD dst_unused:UNUSED_PAD src0_sel:WORD_1 src1_sel:DWORD
	v_fma_f16 v110, v29, s14, -v109
	v_add_f16_e32 v107, v110, v107
	v_mul_f16_sdwa v110, v60, s1 dst_sel:DWORD dst_unused:UNUSED_PAD src0_sel:WORD_1 src1_sel:DWORD
	;; [unrolled: 3-line block ×4, first 2 shown]
	v_fma_f16 v113, v34, s16, -v112
	s_movk_i32 s29, 0x3a62
	v_add_f16_e32 v107, v113, v107
	v_mul_f16_sdwa v113, v57, s29 dst_sel:DWORD dst_unused:UNUSED_PAD src0_sel:WORD_1 src1_sel:DWORD
	v_fma_f16 v114, v35, s15, -v113
	v_add_f16_e32 v107, v114, v107
	v_mul_f16_sdwa v114, v64, s26 dst_sel:DWORD dst_unused:UNUSED_PAD src0_sel:WORD_1 src1_sel:DWORD
	v_fma_f16 v115, v36, s11, -v114
	v_add_f16_e32 v107, v115, v107
	v_mul_f16_e32 v115, 0xbbb2, v63
	v_fma_f16 v116, v54, s14, v115
	v_mul_f16_e32 v117, 0x3836, v62
	v_add_f16_sdwa v116, v0, v116 dst_sel:DWORD dst_unused:UNUSED_PAD src0_sel:WORD_1 src1_sel:DWORD
	v_fma_f16 v118, v56, s16, v117
	v_add_f16_e32 v116, v118, v116
	v_mul_f16_e32 v118, 0x3964, v61
	v_fma_f16 v119, v21, s11, v118
	v_add_f16_e32 v116, v119, v116
	v_mul_f16_e32 v119, 0xbb29, v60
	;; [unrolled: 3-line block ×6, first 2 shown]
	v_fma_f16 v124, v70, s15, v123
	v_add_f16_e32 v116, v124, v116
	v_mul_f16_sdwa v124, v63, s18 dst_sel:DWORD dst_unused:UNUSED_PAD src0_sel:WORD_1 src1_sel:DWORD
	v_fma_f16 v125, v25, s14, -v124
	v_mul_f16_sdwa v126, v62, s27 dst_sel:DWORD dst_unused:UNUSED_PAD src0_sel:WORD_1 src1_sel:DWORD
	v_add_f16_e32 v125, v0, v125
	v_fma_f16 v127, v27, s16, -v126
	v_add_f16_e32 v125, v127, v125
	v_mul_f16_sdwa v127, v61, s26 dst_sel:DWORD dst_unused:UNUSED_PAD src0_sel:WORD_1 src1_sel:DWORD
	v_fma_f16 v128, v29, s11, -v127
	v_add_f16_e32 v125, v128, v125
	v_mul_f16_sdwa v128, v60, s25 dst_sel:DWORD dst_unused:UNUSED_PAD src0_sel:WORD_1 src1_sel:DWORD
	;; [unrolled: 3-line block ×3, first 2 shown]
	v_fma_f16 v130, v33, s17, -v129
	s_movk_i32 s25, 0x3bf7
	v_add_f16_e32 v125, v130, v125
	v_mul_f16_sdwa v130, v58, s25 dst_sel:DWORD dst_unused:UNUSED_PAD src0_sel:WORD_1 src1_sel:DWORD
	v_fma_f16 v131, v34, s13, -v130
	v_add_f16_e32 v125, v131, v125
	v_mul_f16_sdwa v131, v57, s19 dst_sel:DWORD dst_unused:UNUSED_PAD src0_sel:WORD_1 src1_sel:DWORD
	v_fma_f16 v132, v35, s10, -v131
	;; [unrolled: 3-line block ×3, first 2 shown]
	v_add_f16_e32 v125, v133, v125
	v_mul_f16_e32 v133, 0xba62, v63
	v_fma_f16 v134, v54, s15, v133
	v_mul_f16_e32 v135, 0x3bb2, v62
	v_add_f16_sdwa v134, v0, v134 dst_sel:DWORD dst_unused:UNUSED_PAD src0_sel:WORD_1 src1_sel:DWORD
	v_fma_f16 v136, v56, s14, v135
	v_add_f16_e32 v134, v136, v134
	v_mul_f16_e32 v136, 0xb5c8, v61
	v_fma_f16 v137, v21, s10, v136
	v_add_f16_e32 v134, v137, v134
	v_mul_f16_e32 v137, 0xb836, v60
	;; [unrolled: 3-line block ×6, first 2 shown]
	v_fma_f16 v142, v70, s12, v141
	v_add_f16_e32 v134, v142, v134
	v_mul_f16_sdwa v142, v63, s20 dst_sel:DWORD dst_unused:UNUSED_PAD src0_sel:WORD_1 src1_sel:DWORD
	v_fma_f16 v143, v25, s15, -v142
	v_mul_f16_sdwa v144, v62, s28 dst_sel:DWORD dst_unused:UNUSED_PAD src0_sel:WORD_1 src1_sel:DWORD
	v_add_f16_e32 v143, v0, v143
	v_fma_f16 v145, v27, s14, -v144
	v_add_f16_e32 v143, v145, v143
	v_mul_f16_sdwa v145, v61, s19 dst_sel:DWORD dst_unused:UNUSED_PAD src0_sel:WORD_1 src1_sel:DWORD
	v_fma_f16 v146, v29, s10, -v145
	v_add_f16_e32 v143, v146, v143
	v_mul_f16_sdwa v146, v60, s21 dst_sel:DWORD dst_unused:UNUSED_PAD src0_sel:WORD_1 src1_sel:DWORD
	;; [unrolled: 3-line block ×6, first 2 shown]
	v_fma_f16 v151, v36, s12, -v150
	v_add_f16_e32 v143, v151, v143
	v_mul_f16_e32 v151, 0xb836, v63
	v_fma_f16 v152, v54, s16, v151
	v_mul_f16_e32 v153, 0x3b29, v62
	v_add_f16_sdwa v152, v0, v152 dst_sel:DWORD dst_unused:UNUSED_PAD src0_sel:WORD_1 src1_sel:DWORD
	v_fma_f16 v154, v56, s12, v153
	v_add_f16_e32 v152, v154, v152
	v_mul_f16_e32 v154, 0xbbf7, v61
	v_fma_f16 v155, v21, s13, v154
	v_add_f16_e32 v152, v155, v152
	v_mul_f16_e32 v155, 0x3a62, v60
	v_fma_f16 v156, v19, s15, v155
	v_add_f16_e32 v152, v156, v152
	v_mul_f16_e32 v156, 0xb5c8, v59
	v_fma_f16 v157, v17, s10, v156
	v_add_f16_e32 v152, v157, v152
	v_mul_f16_e32 v157, 0xb1e1, v58
	v_fma_f16 v53, v54, s11, -v53
	v_fma_f16 v158, v67, s17, v157
	v_fma_f16 v151, v54, s16, -v151
	v_fma_f16 v133, v54, s15, -v133
	;; [unrolled: 1-line block ×6, first 2 shown]
	v_add_f16_sdwa v53, v0, v53 dst_sel:DWORD dst_unused:UNUSED_PAD src0_sel:WORD_1 src1_sel:DWORD
	v_add_f16_e32 v152, v158, v152
	v_mul_f16_e32 v158, 0x3964, v57
	v_add_f16_sdwa v151, v0, v151 dst_sel:DWORD dst_unused:UNUSED_PAD src0_sel:WORD_1 src1_sel:DWORD
	v_fma_f16 v153, v56, s12, -v153
	v_add_f16_sdwa v133, v0, v133 dst_sel:DWORD dst_unused:UNUSED_PAD src0_sel:WORD_1 src1_sel:DWORD
	v_fma_f16 v135, v56, s14, -v135
	;; [unrolled: 2-line block ×5, first 2 shown]
	v_add_f16_e32 v53, v54, v53
	v_fma_f16 v20, v21, s15, -v20
	v_fma_f16 v159, v68, s11, v158
	v_add_f16_e32 v151, v153, v151
	v_fma_f16 v153, v21, s13, -v154
	v_add_f16_e32 v133, v135, v133
	v_fma_f16 v135, v21, s10, -v136
	;; [unrolled: 2-line block ×6, first 2 shown]
	v_add_f16_e32 v152, v159, v152
	v_mul_f16_e32 v159, 0xbbb2, v64
	v_add_f16_e32 v151, v153, v151
	v_fma_f16 v153, v19, s15, -v155
	v_add_f16_e32 v133, v135, v133
	v_fma_f16 v135, v19, s16, -v137
	;; [unrolled: 2-line block ×6, first 2 shown]
	v_fma_f16 v160, v70, s14, v159
	v_add_f16_e32 v151, v153, v151
	v_fma_f16 v153, v17, s10, -v156
	v_add_f16_e32 v133, v135, v133
	v_fma_f16 v135, v17, s13, -v138
	;; [unrolled: 2-line block ×6, first 2 shown]
	v_add_f16_e32 v152, v160, v152
	v_mul_f16_sdwa v160, v63, s21 dst_sel:DWORD dst_unused:UNUSED_PAD src0_sel:WORD_1 src1_sel:DWORD
	v_add_f16_e32 v16, v17, v16
	v_fma_f16 v17, v68, s12, -v65
	v_fma_f16 v161, v25, s16, -v160
	v_mul_f16_sdwa v162, v62, s0 dst_sel:DWORD dst_unused:UNUSED_PAD src0_sel:WORD_1 src1_sel:DWORD
	v_add_f16_e32 v16, v17, v16
	v_fma_f16 v17, v70, s10, -v69
	v_add_f16_e32 v161, v0, v161
	v_fma_f16 v163, v27, s12, -v162
	v_add_f16_e32 v16, v17, v16
	v_fma_f16 v17, v25, s11, v71
	v_add_f16_e32 v161, v163, v161
	v_mul_f16_sdwa v163, v61, s22 dst_sel:DWORD dst_unused:UNUSED_PAD src0_sel:WORD_1 src1_sel:DWORD
	v_add_f16_e32 v17, v0, v17
	v_fma_f16 v18, v27, s13, v72
	v_fma_f16 v164, v29, s13, -v163
	v_add_f16_e32 v17, v18, v17
	v_fma_f16 v18, v29, s15, v73
	v_add_f16_e32 v161, v164, v161
	v_mul_f16_sdwa v164, v60, s29 dst_sel:DWORD dst_unused:UNUSED_PAD src0_sel:WORD_1 src1_sel:DWORD
	v_add_f16_e32 v17, v18, v17
	v_fma_f16 v18, v32, s17, v74
	v_fma_f16 v165, v32, s15, -v164
	v_add_f16_e32 v17, v18, v17
	v_fma_f16 v18, v33, s16, v75
	v_add_f16_e32 v161, v165, v161
	v_mul_f16_sdwa v165, v59, s19 dst_sel:DWORD dst_unused:UNUSED_PAD src0_sel:WORD_1 src1_sel:DWORD
	v_add_f16_e32 v79, v81, v79
	v_fma_f16 v81, v67, s10, -v85
	v_add_f16_e32 v17, v18, v17
	v_fma_f16 v18, v34, s14, v76
	v_fma_f16 v166, v33, s10, -v165
	v_add_f16_e32 v115, v117, v115
	v_fma_f16 v117, v67, s13, -v121
	v_add_f16_e32 v97, v99, v97
	;; [unrolled: 2-line block ×4, first 2 shown]
	v_fma_f16 v18, v35, s12, v77
	v_add_f16_e32 v161, v166, v161
	v_mul_f16_sdwa v166, v58, s23 dst_sel:DWORD dst_unused:UNUSED_PAD src0_sel:WORD_1 src1_sel:DWORD
	v_pk_mul_f16 v58, v58, s0 op_sel_hi:[1,0]
	v_add_f16_e32 v151, v153, v151
	v_fma_f16 v153, v67, s17, -v157
	v_add_f16_e32 v133, v135, v133
	v_fma_f16 v135, v67, s11, -v139
	;; [unrolled: 2-line block ×5, first 2 shown]
	v_add_f16_e32 v17, v18, v17
	v_fma_f16 v18, v36, s10, v78
	s_mov_b32 s0, 0xffff
	v_add_f16_e32 v151, v153, v151
	v_fma_f16 v153, v68, s11, -v158
	v_add_f16_e32 v133, v135, v133
	v_fma_f16 v135, v68, s17, -v140
	;; [unrolled: 2-line block ×4, first 2 shown]
	v_add_f16_e32 v79, v81, v79
	v_fma_f16 v81, v25, s12, v88
	v_add_f16_e32 v17, v18, v17
	v_bfi_b32 v18, s0, v38, v37
	v_add_f16_e32 v151, v153, v151
	v_fma_f16 v153, v70, s14, -v159
	v_add_f16_e32 v133, v135, v133
	v_fma_f16 v135, v70, s12, -v141
	v_add_f16_e32 v115, v117, v115
	v_fma_f16 v117, v25, s14, v124
	v_add_f16_e32 v97, v99, v97
	v_fma_f16 v99, v25, s13, v106
	v_add_f16_e32 v81, v0, v81
	v_fma_f16 v82, v27, s15, v90
	v_bfi_b32 v19, s0, v40, v39
	v_pk_add_f16 v18, v0, v18
	v_pk_add_f16 v10, v15, v10
	v_add_f16_e32 v151, v153, v151
	v_fma_f16 v153, v25, s16, v160
	v_add_f16_e32 v133, v135, v133
	v_fma_f16 v135, v25, s15, v142
	v_add_f16_e32 v117, v0, v117
	v_fma_f16 v118, v27, s16, v126
	v_add_f16_e32 v99, v0, v99
	v_fma_f16 v100, v27, s17, v108
	v_add_f16_e32 v81, v82, v81
	v_fma_f16 v82, v29, s17, v91
	v_bfi_b32 v20, s0, v42, v41
	v_pk_add_f16 v18, v19, v18
	v_pk_add_f16 v10, v10, v11
	v_add_f16_e32 v153, v0, v153
	v_fma_f16 v154, v27, s12, v162
	v_add_f16_e32 v135, v0, v135
	v_fma_f16 v136, v27, s14, v144
	;; [unrolled: 13-line block ×3, first 2 shown]
	v_add_f16_e32 v117, v118, v117
	v_fma_f16 v118, v32, s12, v128
	v_add_f16_e32 v99, v100, v99
	v_fma_f16 v100, v32, s10, v110
	;; [unrolled: 2-line block ×3, first 2 shown]
	v_bfi_b32 v37, s0, v48, v47
	v_pk_add_f16 v18, v21, v18
	v_pk_add_f16 v10, v10, v13
	v_fma_f16 v167, v34, s17, -v166
	v_add_f16_e32 v153, v154, v153
	v_fma_f16 v154, v32, s15, v164
	v_add_f16_e32 v135, v136, v135
	v_fma_f16 v136, v32, s16, v146
	;; [unrolled: 2-line block ×5, first 2 shown]
	v_bfi_b32 v38, s0, v50, v49
	v_pk_add_f16 v18, v37, v18
	v_pk_add_f16 v8, v10, v8
	v_add_f16_e32 v161, v167, v161
	v_mul_f16_sdwa v167, v57, s26 dst_sel:DWORD dst_unused:UNUSED_PAD src0_sel:WORD_1 src1_sel:DWORD
	v_add_f16_e32 v153, v154, v153
	v_fma_f16 v154, v33, s10, v165
	v_add_f16_e32 v135, v136, v135
	v_fma_f16 v136, v33, s13, v147
	;; [unrolled: 2-line block ×5, first 2 shown]
	v_bfi_b32 v39, s0, v52, v51
	v_pk_add_f16 v18, v38, v18
	v_pk_add_f16 v8, v8, v9
	v_pk_add_f16 v9, v45, v46 op_sel:[0,1] op_sel_hi:[1,0]
	v_pk_add_f16 v11, v45, v46 op_sel:[0,1] op_sel_hi:[1,0] neg_lo:[0,1] neg_hi:[0,1]
	v_fma_f16 v168, v35, s11, -v167
	v_add_f16_e32 v153, v154, v153
	v_fma_f16 v154, v34, s17, v166
	v_add_f16_e32 v135, v136, v135
	v_fma_f16 v136, v34, s11, v148
	;; [unrolled: 2-line block ×5, first 2 shown]
	v_pk_add_f16 v18, v39, v18
	v_bfi_b32 v9, s0, v9, v11
	v_add_f16_e32 v161, v168, v161
	v_mul_f16_sdwa v168, v64, s18 dst_sel:DWORD dst_unused:UNUSED_PAD src0_sel:WORD_1 src1_sel:DWORD
	v_add_f16_e32 v153, v154, v153
	v_fma_f16 v154, v35, s11, v167
	v_add_f16_e32 v135, v136, v135
	v_fma_f16 v136, v35, s17, v149
	;; [unrolled: 2-line block ×4, first 2 shown]
	v_add_f16_e32 v81, v82, v81
	v_lshl_add_u32 v10, v6, 6, v30
	v_pk_add_f16 v9, v9, v18
	v_pk_add_f16 v8, v8, v23
	v_add_f16_e32 v153, v154, v153
	v_fma_f16 v154, v36, s14, v168
	v_add_f16_e32 v135, v136, v135
	v_fma_f16 v136, v36, s12, v150
	v_add_f16_e32 v117, v118, v117
	v_add_f16_e32 v99, v100, v99
	ds_write2_b32 v10, v8, v9 offset1:1
	v_pack_b32_f16 v8, v81, v79
	v_pack_b32_f16 v9, v17, v16
	v_add_f16_e32 v153, v154, v153
	v_add_f16_e32 v135, v136, v135
	ds_write2_b32 v10, v9, v8 offset0:2 offset1:3
	v_pack_b32_f16 v8, v117, v115
	v_pack_b32_f16 v9, v99, v97
	v_fma_f16 v169, v36, s14, -v168
	v_pk_mul_f16 v63, v63, s23 op_sel_hi:[1,0]
	ds_write2_b32 v10, v9, v8 offset0:4 offset1:5
	v_pack_b32_f16 v8, v153, v151
	v_pack_b32_f16 v9, v135, v133
	v_add_f16_e32 v161, v169, v161
	v_pk_fma_f16 v169, v25, s17, v63 op_sel:[0,0,1] op_sel_hi:[1,0,0]
	v_pk_mul_f16 v62, v62, s1 op_sel_hi:[1,0]
	ds_write2_b32 v10, v9, v8 offset0:6 offset1:7
	v_pk_fma_f16 v8, v25, s17, v63 op_sel:[0,0,1] op_sel_hi:[1,0,0] neg_lo:[0,0,1] neg_hi:[0,0,1]
	v_pk_add_f16 v169, v0, v169
	v_pk_fma_f16 v170, v27, s10, v62 op_sel:[0,0,1] op_sel_hi:[1,0,0]
	v_pk_mul_f16 v61, v61, s21 op_sel_hi:[1,0]
	v_pk_add_f16 v0, v0, v8
	v_pk_fma_f16 v8, v27, s10, v62 op_sel:[0,0,1] op_sel_hi:[1,0,0] neg_lo:[0,0,1] neg_hi:[0,0,1]
	v_pk_add_f16 v169, v170, v169
	v_pk_fma_f16 v170, v29, s16, v61 op_sel:[0,0,1] op_sel_hi:[1,0,0]
	v_pk_mul_f16 v60, v60, s26 op_sel_hi:[1,0]
	v_pk_add_f16 v0, v8, v0
	;; [unrolled: 5-line block ×3, first 2 shown]
	v_pk_fma_f16 v8, v32, s11, v60 op_sel:[0,0,1] op_sel_hi:[1,0,0] neg_lo:[0,0,1] neg_hi:[0,0,1]
	v_pk_add_f16 v169, v170, v169
	v_pk_fma_f16 v170, v33, s15, v59 op_sel:[0,0,1] op_sel_hi:[1,0,0]
	v_pk_add_f16 v0, v8, v0
	v_pk_fma_f16 v8, v33, s15, v59 op_sel:[0,0,1] op_sel_hi:[1,0,0] neg_lo:[0,0,1] neg_hi:[0,0,1]
	v_pk_add_f16 v169, v170, v169
	v_pk_fma_f16 v170, v34, s12, v58 op_sel:[0,0,1] op_sel_hi:[1,0,0]
	v_pk_mul_f16 v57, v57, s18 op_sel_hi:[1,0]
	v_pk_add_f16 v0, v8, v0
	v_pk_fma_f16 v8, v34, s12, v58 op_sel:[0,0,1] op_sel_hi:[1,0,0] neg_lo:[0,0,1] neg_hi:[0,0,1]
	v_pk_add_f16 v169, v170, v169
	v_pk_fma_f16 v170, v35, s14, v57 op_sel:[0,0,1] op_sel_hi:[1,0,0]
	v_pk_mul_f16 v64, v64, s25 op_sel_hi:[1,0]
	v_pk_add_f16 v0, v8, v0
	v_pk_fma_f16 v8, v35, s14, v57 op_sel:[0,0,1] op_sel_hi:[1,0,0] neg_lo:[0,0,1] neg_hi:[0,0,1]
	v_pk_add_f16 v169, v170, v169
	v_pk_fma_f16 v170, v36, s13, v64 op_sel:[0,0,1] op_sel_hi:[1,0,0]
	v_pk_add_f16 v0, v8, v0
	v_pk_fma_f16 v8, v36, s13, v64 op_sel:[0,0,1] op_sel_hi:[1,0,0] neg_lo:[0,0,1] neg_hi:[0,0,1]
	v_pk_add_f16 v169, v170, v169
	v_pk_add_f16 v0, v8, v0
	s_nop 0
	v_bfi_b32 v8, s0, v0, v169
	v_bfi_b32 v0, s0, v169, v0
	ds_write2_b32 v10, v0, v8 offset0:8 offset1:9
	v_pack_b32_f16 v0, v143, v134
	v_pack_b32_f16 v8, v161, v152
	ds_write2_b32 v10, v8, v0 offset0:10 offset1:11
	v_pack_b32_f16 v0, v107, v98
	v_pack_b32_f16 v8, v125, v116
	ds_write2_b32 v10, v8, v0 offset0:12 offset1:13
	v_pack_b32_f16 v0, v14, v1
	v_pack_b32_f16 v1, v89, v80
	s_mov_b32 s0, 0x5040100
	ds_write2_b32 v10, v1, v0 offset0:14 offset1:15
	v_perm_b32 v0, v31, v7, s0
	ds_write_b32 v10, v0 offset:64
.LBB0_15:
	s_or_b64 exec, exec, s[4:5]
	v_add_u32_e32 v13, 0x341, v6
	s_mov_b32 s1, 0xf0f1
	v_mul_u32_u24_sdwa v23, v13, s1 dst_sel:DWORD dst_unused:UNUSED_PAD src0_sel:WORD_0 src1_sel:DWORD
	v_add_u32_e32 v10, 0x2ca, v6
	v_lshrrev_b32_e32 v25, 20, v23
	v_mul_lo_u16_e32 v9, 17, v25
	v_mul_u32_u24_sdwa v40, v10, s1 dst_sel:DWORD dst_unused:UNUSED_PAD src0_sel:WORD_0 src1_sel:DWORD
	v_add_u32_e32 v12, 0x253, v6
	v_sub_u16_e32 v9, v13, v9
	v_lshrrev_b32_e32 v38, 20, v40
	v_lshlrev_b32_e32 v27, 2, v9
	v_mul_lo_u16_e32 v9, 17, v38
	v_mul_u32_u24_sdwa v42, v12, s1 dst_sel:DWORD dst_unused:UNUSED_PAD src0_sel:WORD_0 src1_sel:DWORD
	v_add_u32_e32 v8, 0x1dc, v6
	v_sub_u16_e32 v9, v10, v9
	v_lshrrev_b32_e32 v43, 20, v42
	v_lshlrev_b32_e32 v39, 2, v9
	;; [unrolled: 6-line block ×3, first 2 shown]
	v_mul_lo_u16_e32 v9, 17, v47
	v_mul_u32_u24_sdwa v50, v0, s1 dst_sel:DWORD dst_unused:UNUSED_PAD src0_sel:WORD_0 src1_sel:DWORD
	v_sub_u16_e32 v9, v8, v9
	v_lshrrev_b32_e32 v51, 20, v50
	v_lshlrev_b32_e32 v48, 2, v9
	v_mul_lo_u16_e32 v9, 17, v51
	v_add_u32_e32 v1, 0xee, v6
	v_sub_u16_e32 v9, v0, v9
	s_load_dwordx2 s[4:5], s[2:3], 0x0
	s_waitcnt lgkmcnt(0)
	s_barrier
	global_load_dword v29, v27, s[8:9]
	global_load_dword v41, v39, s[8:9]
	;; [unrolled: 1-line block ×4, first 2 shown]
	v_lshlrev_b32_e32 v52, 2, v9
	global_load_dword v53, v52, s[8:9]
	v_mul_u32_u24_sdwa v9, v1, s1 dst_sel:DWORD dst_unused:UNUSED_PAD src0_sel:WORD_0 src1_sel:DWORD
	s_movk_i32 s0, 0xf1
	v_add_u16_e32 v36, 0x77, v6
	v_lshrrev_b32_e32 v54, 20, v9
	v_mul_lo_u16_sdwa v37, v36, s0 dst_sel:DWORD dst_unused:UNUSED_PAD src0_sel:BYTE_0 src1_sel:DWORD
	v_mul_lo_u16_e32 v11, 17, v54
	v_sub_u16_e32 v11, v1, v11
	v_lshrrev_b16_e32 v57, 12, v37
	v_lshlrev_b32_e32 v55, 2, v11
	global_load_dword v56, v55, s[8:9]
	v_mul_lo_u16_e32 v11, 17, v57
	v_mul_lo_u16_sdwa v60, v6, s0 dst_sel:DWORD dst_unused:UNUSED_PAD src0_sel:BYTE_0 src1_sel:DWORD
	v_sub_u16_e32 v16, v36, v11
	v_mov_b32_e32 v11, 2
	v_lshrrev_b16_e32 v61, 12, v60
	v_lshlrev_b32_sdwa v58, v11, v16 dst_sel:DWORD dst_unused:UNUSED_PAD src0_sel:DWORD src1_sel:BYTE_0
	global_load_dword v59, v58, s[8:9]
	v_mul_lo_u16_e32 v16, 17, v61
	v_sub_u16_e32 v16, v6, v16
	v_lshlrev_b32_sdwa v62, v11, v16 dst_sel:DWORD dst_unused:UNUSED_PAD src0_sel:DWORD src1_sel:BYTE_0
	global_load_dword v63, v62, s[8:9]
	s_mov_b32 s1, 0x5040100
	s_movk_i32 s2, 0x88
	v_perm_b32 v47, v47, v51, s1
	v_perm_b32 v38, v38, v43, s1
	v_pk_mul_lo_u16 v47, v47, s2 op_sel_hi:[1,0]
	v_pk_mul_lo_u16 v38, v38, s2 op_sel_hi:[1,0]
	v_lshl_add_u32 v35, v0, 2, 0
	v_lshl_add_u32 v34, v8, 2, 0
	v_and_b32_e32 v51, 0xfff8, v47
	v_lshrrev_b32_e32 v47, 16, v47
	v_and_b32_e32 v43, 0xfff8, v38
	ds_read2_b32 v[14:15], v30 offset1:119
	ds_read2_b32 v[16:17], v22 offset0:65 offset1:184
	ds_read2_b32 v[18:19], v24 offset0:47 offset1:166
	ds_read_b32 v64, v30 offset:952
	ds_read2_b32 v[20:21], v26 offset0:29 offset1:148
	v_lshl_add_u32 v33, v12, 2, 0
	v_lshl_add_u32 v32, v10, 2, 0
	ds_read_b32 v65, v34
	ds_read_b32 v66, v33
	;; [unrolled: 1-line block ×3, first 2 shown]
	v_add3_u32 v47, 0, v47, v48
	v_add3_u32 v43, 0, v43, v44
	ds_read_b32 v44, v35
	ds_read_b32 v48, v30 offset:7140
	v_lshrrev_b32_e32 v38, 16, v38
	v_add3_u32 v51, 0, v51, v52
	v_add3_u32 v52, 0, v38, v39
	ds_read2_b32 v[38:39], v28 offset0:11 offset1:130
	v_mul_u32_u24_e32 v25, 0x88, v25
	v_mul_u32_u24_e32 v54, 0x88, v54
	v_add3_u32 v25, 0, v25, v27
	v_add3_u32 v54, 0, v54, v55
	s_mov_b32 s0, 0xffff
	v_mul_u32_u24_e32 v61, 0x88, v61
	v_add3_u32 v61, 0, v61, v62
	v_mul_u32_u24_e32 v57, 0x88, v57
	v_lshrrev_b32_e32 v23, 21, v23
	v_add3_u32 v57, 0, v57, v58
	s_waitcnt lgkmcnt(0)
	s_barrier
	s_movk_i32 s2, 0x110
	s_waitcnt vmcnt(7)
	v_pk_mul_f16 v27, v48, v29 op_sel:[0,1]
	s_nop 0
	v_pk_fma_f16 v55, v48, v29, v27 op_sel:[0,0,1] op_sel_hi:[1,1,0]
	v_pk_fma_f16 v27, v48, v29, v27 op_sel:[0,0,1] op_sel_hi:[1,0,0] neg_lo:[0,0,1] neg_hi:[0,0,1]
	s_waitcnt vmcnt(6)
	v_pk_mul_f16 v29, v39, v41 op_sel:[0,1]
	v_bfi_b32 v27, s0, v55, v27
	v_pk_fma_f16 v48, v39, v41, v29 op_sel:[0,0,1] op_sel_hi:[1,1,0]
	v_pk_fma_f16 v29, v39, v41, v29 op_sel:[0,0,1] op_sel_hi:[1,0,0] neg_lo:[0,0,1] neg_hi:[0,0,1]
	s_waitcnt vmcnt(5)
	v_pk_mul_f16 v41, v38, v45 op_sel:[0,1]
	v_bfi_b32 v29, s0, v48, v29
	;; [unrolled: 5-line block ×3, first 2 shown]
	v_pk_fma_f16 v48, v21, v49, v45 op_sel:[0,0,1] op_sel_hi:[1,1,0]
	v_pk_fma_f16 v21, v21, v49, v45 op_sel:[0,0,1] op_sel_hi:[1,0,0] neg_lo:[0,0,1] neg_hi:[0,0,1]
	v_pk_add_f16 v27, v16, v27 neg_lo:[0,1] neg_hi:[0,1]
	v_bfi_b32 v21, s0, v48, v21
	s_waitcnt vmcnt(3)
	v_pk_mul_f16 v48, v53, v20 op_sel:[0,1]
	v_pk_add_f16 v29, v67, v29 neg_lo:[0,1] neg_hi:[0,1]
	v_pk_fma_f16 v49, v53, v20, v48 op_sel:[0,0,1] op_sel_hi:[1,1,0]
	v_pk_fma_f16 v20, v53, v20, v48 op_sel:[0,0,1] op_sel_hi:[1,0,0] neg_lo:[1,0,0] neg_hi:[1,0,0]
	s_waitcnt vmcnt(2)
	v_pk_mul_f16 v48, v56, v19 op_sel:[0,1]
	v_bfi_b32 v20, s0, v49, v20
	v_pk_fma_f16 v49, v56, v19, v48 op_sel:[0,0,1] op_sel_hi:[1,1,0]
	v_pk_fma_f16 v19, v56, v19, v48 op_sel:[0,0,1] op_sel_hi:[1,0,0] neg_lo:[1,0,0] neg_hi:[1,0,0]
	v_pk_add_f16 v38, v66, v38 neg_lo:[0,1] neg_hi:[0,1]
	v_bfi_b32 v19, s0, v49, v19
	s_waitcnt vmcnt(1)
	v_pk_mul_f16 v49, v59, v18 op_sel:[0,1]
	v_pk_add_f16 v21, v65, v21 neg_lo:[0,1] neg_hi:[0,1]
	v_pk_fma_f16 v53, v59, v18, v49 op_sel:[0,0,1] op_sel_hi:[1,1,0]
	v_pk_fma_f16 v18, v59, v18, v49 op_sel:[0,0,1] op_sel_hi:[1,0,0] neg_lo:[1,0,0] neg_hi:[1,0,0]
	s_waitcnt vmcnt(0)
	v_pk_mul_f16 v49, v63, v17 op_sel:[0,1]
	v_bfi_b32 v18, s0, v53, v18
	v_pk_fma_f16 v53, v63, v17, v49 op_sel:[0,0,1] op_sel_hi:[1,1,0]
	v_pk_fma_f16 v17, v63, v17, v49 op_sel:[0,0,1] op_sel_hi:[1,0,0] neg_lo:[1,0,0] neg_hi:[1,0,0]
	v_pk_add_f16 v20, v44, v20 neg_lo:[0,1] neg_hi:[0,1]
	v_bfi_b32 v17, s0, v53, v17
	v_pk_add_f16 v17, v14, v17 neg_lo:[0,1] neg_hi:[0,1]
	v_pk_add_f16 v19, v64, v19 neg_lo:[0,1] neg_hi:[0,1]
	;; [unrolled: 1-line block ×3, first 2 shown]
	v_pk_fma_f16 v14, v14, 2.0, v17 op_sel_hi:[1,0,1] neg_lo:[0,0,1] neg_hi:[0,0,1]
	v_pk_fma_f16 v16, v16, 2.0, v27 op_sel_hi:[1,0,1] neg_lo:[0,0,1] neg_hi:[0,0,1]
	;; [unrolled: 1-line block ×8, first 2 shown]
	ds_write2_b32 v61, v14, v17 offset1:17
	ds_write2_b32 v57, v15, v18 offset1:17
	;; [unrolled: 1-line block ×8, first 2 shown]
	v_mul_lo_u16_e32 v14, 34, v23
	v_lshrrev_b32_e32 v27, 21, v40
	v_sub_u16_e32 v13, v13, v14
	v_mul_lo_u16_e32 v14, 34, v27
	v_sub_u16_e32 v14, v10, v14
	v_lshrrev_b32_e32 v38, 21, v42
	v_lshlrev_b32_e32 v29, 2, v14
	v_mul_lo_u16_e32 v14, 34, v38
	v_sub_u16_e32 v14, v12, v14
	v_lshrrev_b32_e32 v39, 21, v46
	v_lshlrev_b32_e32 v41, 2, v14
	;; [unrolled: 4-line block ×3, first 2 shown]
	v_lshlrev_b32_e32 v43, 2, v14
	v_mul_lo_u16_e32 v14, 34, v45
	s_waitcnt lgkmcnt(0)
	s_barrier
	global_load_dword v13, v25, s[8:9] offset:68
	global_load_dword v40, v29, s[8:9] offset:68
	;; [unrolled: 1-line block ×4, first 2 shown]
	v_sub_u16_e32 v14, v0, v14
	v_lshrrev_b32_e32 v48, 21, v9
	v_lshlrev_b32_e32 v46, 2, v14
	global_load_dword v47, v46, s[8:9] offset:68
	v_mul_lo_u16_e32 v14, 34, v48
	v_sub_u16_e32 v14, v1, v14
	v_lshrrev_b16_e32 v51, 13, v37
	v_lshlrev_b32_e32 v49, 2, v14
	global_load_dword v50, v49, s[8:9] offset:68
	v_mul_lo_u16_e32 v14, 34, v51
	v_sub_u16_e32 v14, v36, v14
	v_lshrrev_b16_e32 v54, 13, v60
	v_lshlrev_b32_sdwa v52, v11, v14 dst_sel:DWORD dst_unused:UNUSED_PAD src0_sel:DWORD src1_sel:BYTE_0
	global_load_dword v53, v52, s[8:9] offset:68
	v_mul_lo_u16_e32 v14, 34, v54
	v_sub_u16_e32 v14, v6, v14
	v_lshlrev_b32_sdwa v55, v11, v14 dst_sel:DWORD dst_unused:UNUSED_PAD src0_sel:DWORD src1_sel:BYTE_0
	global_load_dword v56, v55, s[8:9] offset:68
	v_perm_b32 v39, v39, v45, s1
	v_pk_mul_lo_u16 v39, v39, s2 op_sel_hi:[1,0]
	ds_read_b32 v57, v30 offset:952
	ds_read_b32 v58, v34
	ds_read_b32 v59, v33
	;; [unrolled: 1-line block ×4, first 2 shown]
	ds_read_b32 v37, v30 offset:7140
	ds_read2_b32 v[14:15], v30 offset1:119
	ds_read2_b32 v[16:17], v22 offset0:65 offset1:184
	ds_read2_b32 v[18:19], v24 offset0:47 offset1:166
	;; [unrolled: 1-line block ×3, first 2 shown]
	v_and_b32_e32 v45, 0xfff0, v39
	v_lshrrev_b32_e32 v39, 16, v39
	v_add3_u32 v43, 0, v39, v43
	v_perm_b32 v27, v27, v38, s1
	ds_read2_b32 v[38:39], v28 offset0:11 offset1:130
	v_pk_mul_lo_u16 v27, v27, s2 op_sel_hi:[1,0]
	v_add3_u32 v45, 0, v45, v46
	v_and_b32_e32 v46, 0xfff0, v27
	v_lshrrev_b32_e32 v27, 16, v27
	v_add3_u32 v27, 0, v27, v29
	v_add3_u32 v41, 0, v46, v41
	v_mul_u32_u24_e32 v48, 0x110, v48
	v_add3_u32 v48, 0, v48, v49
	v_mul_u32_u24_e32 v51, 0x110, v51
	v_add3_u32 v51, 0, v51, v52
	s_waitcnt lgkmcnt(0)
	s_barrier
	s_waitcnt vmcnt(7)
	v_pk_mul_f16 v62, v37, v13 op_sel:[1,0]
	s_waitcnt vmcnt(6)
	v_pk_mul_f16 v29, v39, v40 op_sel:[0,1]
	v_pk_fma_f16 v63, v37, v13, v62 op_sel:[0,0,1] op_sel_hi:[0,1,0] neg_lo:[1,0,0] neg_hi:[1,0,0]
	v_pk_fma_f16 v46, v39, v40, v29 op_sel:[0,0,1] op_sel_hi:[1,1,0]
	v_pk_fma_f16 v29, v39, v40, v29 op_sel:[0,0,1] op_sel_hi:[1,0,0] neg_lo:[0,0,1] neg_hi:[0,0,1]
	s_waitcnt vmcnt(5)
	v_pk_mul_f16 v40, v38, v42 op_sel:[0,1]
	v_bfi_b32 v29, s0, v46, v29
	v_pk_fma_f16 v46, v38, v42, v40 op_sel:[0,0,1] op_sel_hi:[1,1,0]
	v_pk_fma_f16 v38, v38, v42, v40 op_sel:[0,0,1] op_sel_hi:[1,0,0] neg_lo:[0,0,1] neg_hi:[0,0,1]
	s_waitcnt vmcnt(4)
	v_pk_mul_f16 v42, v21, v44 op_sel:[0,1]
	v_bfi_b32 v38, s0, v46, v38
	v_pk_fma_f16 v46, v21, v44, v42 op_sel:[0,0,1] op_sel_hi:[1,1,0]
	v_pk_fma_f16 v21, v21, v44, v42 op_sel:[0,0,1] op_sel_hi:[1,0,0] neg_lo:[0,0,1] neg_hi:[0,0,1]
	s_waitcnt vmcnt(3)
	v_pk_mul_f16 v44, v47, v20 op_sel:[0,1]
	v_bfi_b32 v21, s0, v46, v21
	v_pk_fma_f16 v46, v47, v20, v44 op_sel:[0,0,1] op_sel_hi:[1,1,0]
	v_pk_fma_f16 v20, v47, v20, v44 op_sel:[0,0,1] op_sel_hi:[1,0,0] neg_lo:[1,0,0] neg_hi:[1,0,0]
	v_pk_fma_f16 v13, v37, v13, v62 op_sel:[0,0,1] op_sel_hi:[0,1,0]
	v_bfi_b32 v20, s0, v46, v20
	s_waitcnt vmcnt(2)
	v_pk_mul_f16 v46, v50, v19 op_sel:[0,1]
	v_bfi_b32 v13, s0, v13, v63
	v_pk_fma_f16 v47, v50, v19, v46 op_sel:[0,0,1] op_sel_hi:[1,1,0]
	v_pk_fma_f16 v19, v50, v19, v46 op_sel:[0,0,1] op_sel_hi:[1,0,0] neg_lo:[1,0,0] neg_hi:[1,0,0]
	v_pk_add_f16 v37, v16, v13 neg_lo:[0,1] neg_hi:[0,1]
	v_bfi_b32 v19, s0, v47, v19
	s_waitcnt vmcnt(1)
	v_pk_mul_f16 v47, v53, v18 op_sel:[0,1]
	v_pk_fma_f16 v13, v16, 2.0, v37 op_sel_hi:[1,0,1] neg_lo:[0,0,1] neg_hi:[0,0,1]
	v_pk_fma_f16 v49, v53, v18, v47 op_sel:[0,0,1] op_sel_hi:[1,1,0]
	v_pk_fma_f16 v18, v53, v18, v47 op_sel:[0,0,1] op_sel_hi:[1,0,0] neg_lo:[1,0,0] neg_hi:[1,0,0]
	s_waitcnt vmcnt(0)
	v_pk_mul_f16 v47, v56, v17 op_sel:[0,1]
	v_bfi_b32 v18, s0, v49, v18
	v_pk_fma_f16 v49, v56, v17, v47 op_sel:[0,0,1] op_sel_hi:[1,1,0]
	v_pk_fma_f16 v17, v56, v17, v47 op_sel:[0,0,1] op_sel_hi:[1,0,0] neg_lo:[1,0,0] neg_hi:[1,0,0]
	v_mul_u32_u24_e32 v16, 0x110, v54
	v_bfi_b32 v17, s0, v49, v17
	v_pk_add_f16 v17, v14, v17 neg_lo:[0,1] neg_hi:[0,1]
	v_add3_u32 v16, 0, v16, v55
	v_pk_add_f16 v29, v60, v29 neg_lo:[0,1] neg_hi:[0,1]
	v_pk_add_f16 v38, v59, v38 neg_lo:[0,1] neg_hi:[0,1]
	;; [unrolled: 1-line block ×6, first 2 shown]
	v_pk_fma_f16 v14, v14, 2.0, v17 op_sel_hi:[1,0,1] neg_lo:[0,0,1] neg_hi:[0,0,1]
	v_pk_fma_f16 v39, v60, 2.0, v29 op_sel_hi:[1,0,1] neg_lo:[0,0,1] neg_hi:[0,0,1]
	;; [unrolled: 1-line block ×7, first 2 shown]
	ds_write2_b32 v16, v14, v17 offset1:34
	ds_write2_b32 v51, v15, v18 offset1:34
	;; [unrolled: 1-line block ×7, first 2 shown]
	v_mul_u32_u24_e32 v14, 0x110, v23
	v_add3_u32 v14, 0, v14, v25
	ds_write2_b32 v14, v13, v37 offset1:34
	v_add_u32_e32 v14, 0x400, v30
	s_waitcnt lgkmcnt(0)
	s_barrier
	ds_read2_b32 v[18:19], v14 offset0:16 offset1:135
	v_add_u32_e32 v14, 0x800, v30
	ds_read2_b32 v[16:17], v30 offset1:119
	ds_read2_b32 v[20:21], v14 offset0:32 offset1:151
	ds_read2_b32 v[22:23], v22 offset0:48 offset1:167
	;; [unrolled: 1-line block ×5, first 2 shown]
	v_cmp_gt_u32_e64 s[0:1], 34, v6
	v_lshrrev_b32_e32 v38, 16, v37
                                        ; implicit-def: $vgpr41
                                        ; implicit-def: $vgpr39
                                        ; implicit-def: $vgpr46
                                        ; implicit-def: $vgpr45
                                        ; implicit-def: $vgpr43
                                        ; implicit-def: $vgpr42
                                        ; implicit-def: $vgpr44
                                        ; implicit-def: $vgpr40
	s_and_saveexec_b64 s[2:3], s[0:1]
	s_cbranch_execz .LBB0_17
; %bb.16:
	ds_read_b32 v13, v30 offset:952
	ds_read_b32 v37, v30 offset:2040
	ds_read_b32 v7, v30 offset:3128
	ds_read_b32 v40, v30 offset:4216
	ds_read_b32 v39, v30 offset:5304
	ds_read_b32 v42, v30 offset:6392
	ds_read_b32 v45, v30 offset:7480
	s_waitcnt lgkmcnt(5)
	v_lshrrev_b32_e32 v38, 16, v37
	s_waitcnt lgkmcnt(4)
	v_lshrrev_b32_e32 v31, 16, v7
	;; [unrolled: 2-line block ×6, first 2 shown]
.LBB0_17:
	s_or_b64 exec, exec, s[2:3]
	s_movk_i32 s2, 0x44
	v_add_u32_e32 v14, 0xffffffbc, v6
	v_cmp_gt_u32_e64 s[2:3], s2, v6
	v_mov_b32_e32 v15, 0
	s_waitcnt lgkmcnt(6)
	v_lshrrev_b32_e32 v64, 16, v18
	v_cndmask_b32_e64 v47, v14, v6, s[2:3]
	v_mul_i32_i24_e32 v14, 6, v47
	v_lshl_add_u64 v[52:53], v[14:15], 2, s[8:9]
	s_movk_i32 s2, 0x79
	global_load_dwordx4 v[48:51], v[52:53], off offset:204
	global_load_dwordx2 v[56:57], v[52:53], off offset:220
	v_mul_lo_u16_sdwa v52, v36, s2 dst_sel:DWORD dst_unused:UNUSED_PAD src0_sel:BYTE_0 src1_sel:DWORD
	v_lshrrev_b16_e32 v60, 13, v52
	v_mul_lo_u16_e32 v52, 0x44, v60
	v_mov_b32_e32 v14, 6
	v_sub_u16_e32 v36, v36, v52
	v_mul_u32_u24_sdwa v14, v36, v14 dst_sel:DWORD dst_unused:UNUSED_PAD src0_sel:BYTE_0 src1_sel:DWORD
	v_lshlrev_b32_e32 v14, 2, v14
	global_load_dwordx4 v[52:55], v14, s[8:9] offset:204
	global_load_dwordx2 v[58:59], v14, s[8:9] offset:220
	s_waitcnt lgkmcnt(4)
	v_lshrrev_b32_e32 v65, 16, v20
	s_waitcnt lgkmcnt(1)
	v_lshrrev_b32_e32 v68, 16, v26
	;; [unrolled: 2-line block ×3, first 2 shown]
	v_lshrrev_b32_e32 v66, 16, v22
	v_lshrrev_b32_e32 v67, 16, v24
	;; [unrolled: 1-line block ×8, first 2 shown]
	s_movk_i32 s13, 0x2b26
	s_mov_b32 s10, 0xbb00
	s_mov_b32 s12, 0xbcab
	s_movk_i32 s11, 0x39e0
	s_mov_b32 s15, 0xb9e0
	s_mov_b32 s16, 0xb574
	s_movk_i32 s17, 0x3574
	s_mov_b32 s14, 0xb70e
	s_movk_i32 s2, 0x43
	v_cmp_lt_u32_e64 s[2:3], s2, v6
	v_lshlrev_b32_e32 v47, 2, v47
	s_barrier
	v_lshlrev_b32_sdwa v11, v11, v36 dst_sel:DWORD dst_unused:UNUSED_PAD src0_sel:DWORD src1_sel:BYTE_0
	s_waitcnt vmcnt(3)
	v_mul_f16_sdwa v72, v48, v64 dst_sel:DWORD dst_unused:UNUSED_PAD src0_sel:WORD_1 src1_sel:DWORD
	v_mul_f16_sdwa v73, v48, v18 dst_sel:DWORD dst_unused:UNUSED_PAD src0_sel:WORD_1 src1_sel:DWORD
	;; [unrolled: 1-line block ×4, first 2 shown]
	s_waitcnt vmcnt(2)
	v_mul_f16_sdwa v80, v56, v68 dst_sel:DWORD dst_unused:UNUSED_PAD src0_sel:WORD_1 src1_sel:DWORD
	v_mul_f16_sdwa v81, v56, v26 dst_sel:DWORD dst_unused:UNUSED_PAD src0_sel:WORD_1 src1_sel:DWORD
	;; [unrolled: 1-line block ×8, first 2 shown]
	v_fma_f16 v18, v48, v18, v72
	v_fma_f16 v48, v48, v64, -v73
	v_fma_f16 v20, v49, v20, v74
	v_fma_f16 v49, v49, v65, -v75
	;; [unrolled: 2-line block ×6, first 2 shown]
	v_add_f16_e32 v64, v18, v28
	v_add_f16_e32 v65, v48, v57
	v_sub_f16_e32 v18, v18, v28
	v_sub_f16_e32 v28, v48, v57
	v_add_f16_e32 v48, v20, v26
	v_add_f16_e32 v57, v49, v56
	v_sub_f16_e32 v20, v20, v26
	v_sub_f16_e32 v26, v49, v56
	v_add_f16_e32 v49, v22, v24
	v_add_f16_e32 v56, v50, v51
	s_waitcnt vmcnt(1)
	v_mul_f16_sdwa v66, v52, v70 dst_sel:DWORD dst_unused:UNUSED_PAD src0_sel:WORD_1 src1_sel:DWORD
	v_mul_f16_sdwa v67, v52, v19 dst_sel:DWORD dst_unused:UNUSED_PAD src0_sel:WORD_1 src1_sel:DWORD
	v_mul_f16_sdwa v72, v14, v54 dst_sel:DWORD dst_unused:UNUSED_PAD src0_sel:DWORD src1_sel:WORD_1
	v_mul_f16_sdwa v73, v23, v54 dst_sel:DWORD dst_unused:UNUSED_PAD src0_sel:DWORD src1_sel:WORD_1
	;; [unrolled: 1-line block ×4, first 2 shown]
	s_waitcnt vmcnt(0)
	v_mul_f16_sdwa v76, v62, v58 dst_sel:DWORD dst_unused:UNUSED_PAD src0_sel:DWORD src1_sel:WORD_1
	v_mul_f16_sdwa v77, v27, v58 dst_sel:DWORD dst_unused:UNUSED_PAD src0_sel:DWORD src1_sel:WORD_1
	;; [unrolled: 1-line block ×4, first 2 shown]
	v_sub_f16_e32 v22, v24, v22
	v_sub_f16_e32 v24, v51, v50
	v_add_f16_e32 v50, v48, v64
	v_add_f16_e32 v51, v57, v65
	v_mul_f16_sdwa v68, v53, v71 dst_sel:DWORD dst_unused:UNUSED_PAD src0_sel:WORD_1 src1_sel:DWORD
	v_fma_f16 v19, v52, v19, v66
	v_fma_f16 v52, v52, v70, -v67
	v_fma_f16 v23, v23, v54, v72
	v_fma_f16 v14, v14, v54, -v73
	;; [unrolled: 2-line block ×5, first 2 shown]
	v_sub_f16_e32 v59, v48, v64
	v_sub_f16_e32 v61, v57, v65
	;; [unrolled: 1-line block ×6, first 2 shown]
	v_add_f16_e32 v64, v22, v20
	v_add_f16_e32 v65, v24, v26
	v_sub_f16_e32 v66, v22, v20
	v_sub_f16_e32 v67, v24, v26
	;; [unrolled: 1-line block ×4, first 2 shown]
	v_add_f16_e32 v49, v49, v50
	v_add_f16_e32 v50, v56, v51
	v_mul_f16_sdwa v69, v53, v21 dst_sel:DWORD dst_unused:UNUSED_PAD src0_sel:WORD_1 src1_sel:DWORD
	v_fma_f16 v21, v53, v21, v68
	v_sub_f16_e32 v22, v18, v22
	v_sub_f16_e32 v24, v28, v24
	v_add_f16_e32 v18, v64, v18
	v_add_f16_e32 v28, v65, v28
	;; [unrolled: 1-line block ×3, first 2 shown]
	v_add_f16_sdwa v16, v50, v16 dst_sel:DWORD dst_unused:UNUSED_PAD src0_sel:DWORD src1_sel:WORD_1
	v_mul_f16_e32 v56, 0x3a52, v62
	v_mul_f16_e32 v62, 0x3a52, v63
	;; [unrolled: 1-line block ×8, first 2 shown]
	v_fma_f16 v49, v49, s12, v51
	v_fma_f16 v50, v50, s12, v16
	;; [unrolled: 1-line block ×4, first 2 shown]
	v_fma_f16 v63, v59, s11, -v63
	v_fma_f16 v64, v61, s11, -v64
	v_fma_f16 v56, v59, s15, -v56
	v_fma_f16 v59, v61, s15, -v62
	v_fma_f16 v61, v22, s16, v65
	v_fma_f16 v62, v24, s16, v66
	v_fma_f16 v20, v20, s10, -v65
	v_fma_f16 v22, v22, s17, -v67
	;; [unrolled: 1-line block ×5, first 2 shown]
	v_add_f16_e32 v48, v48, v49
	v_add_f16_e32 v57, v57, v50
	;; [unrolled: 1-line block ×6, first 2 shown]
	v_fma_f16 v56, v18, s14, v61
	v_fma_f16 v20, v18, s14, v20
	;; [unrolled: 1-line block ×6, first 2 shown]
	v_sub_f16_e32 v28, v57, v56
	v_add_f16_e32 v61, v22, v49
	v_sub_f16_e32 v62, v50, v18
	v_sub_f16_e32 v22, v49, v22
	v_add_f16_e32 v18, v18, v50
	v_add_f16_e32 v49, v56, v57
	;; [unrolled: 1-line block ×4, first 2 shown]
	v_sub_f16_e32 v19, v19, v29
	v_sub_f16_e32 v29, v52, v58
	v_add_f16_e32 v52, v21, v27
	v_add_f16_e32 v57, v53, v55
	v_sub_f16_e32 v21, v21, v27
	v_sub_f16_e32 v27, v53, v55
	v_add_f16_e32 v53, v23, v25
	v_add_f16_e32 v55, v14, v54
	;; [unrolled: 4-line block ×3, first 2 shown]
	v_add_f16_e32 v24, v59, v48
	v_sub_f16_e32 v65, v63, v26
	v_add_f16_e32 v66, v20, v64
	v_add_f16_e32 v26, v26, v63
	v_sub_f16_e32 v20, v64, v20
	v_sub_f16_e32 v48, v48, v59
	;; [unrolled: 1-line block ×8, first 2 shown]
	v_add_f16_e32 v63, v23, v21
	v_add_f16_e32 v64, v14, v27
	v_sub_f16_e32 v67, v23, v21
	v_sub_f16_e32 v68, v14, v27
	;; [unrolled: 1-line block ×3, first 2 shown]
	v_add_f16_e32 v25, v53, v25
	v_add_f16_e32 v53, v55, v54
	v_sub_f16_e32 v23, v19, v23
	v_sub_f16_e32 v14, v29, v14
	;; [unrolled: 1-line block ×3, first 2 shown]
	v_add_f16_e32 v19, v63, v19
	v_add_f16_e32 v29, v64, v29
	;; [unrolled: 1-line block ×3, first 2 shown]
	v_add_f16_sdwa v17, v53, v17 dst_sel:DWORD dst_unused:UNUSED_PAD src0_sel:DWORD src1_sel:WORD_1
	v_mul_f16_e32 v50, 0x3a52, v50
	v_mul_f16_e32 v55, 0x3a52, v56
	;; [unrolled: 1-line block ×8, first 2 shown]
	v_fma_f16 v25, v25, s12, v54
	v_fma_f16 v53, v53, s12, v17
	;; [unrolled: 1-line block ×4, first 2 shown]
	v_fma_f16 v56, v58, s11, -v56
	v_fma_f16 v63, v59, s11, -v63
	;; [unrolled: 1-line block ×4, first 2 shown]
	v_fma_f16 v59, v14, s16, v67
	v_fma_f16 v14, v14, s17, -v69
	v_fma_f16 v58, v23, s16, v64
	v_fma_f16 v21, v21, s10, -v64
	v_fma_f16 v23, v23, s17, -v68
	v_add_f16_e32 v52, v52, v25
	v_add_f16_e32 v56, v56, v25
	;; [unrolled: 1-line block ×4, first 2 shown]
	v_fma_f16 v55, v29, s14, v59
	v_fma_f16 v14, v29, s14, v14
	v_add_f16_e32 v57, v57, v53
	v_add_f16_e32 v63, v63, v53
	v_fma_f16 v53, v19, s14, v58
	v_fma_f16 v21, v19, s14, v21
	;; [unrolled: 1-line block ×3, first 2 shown]
	v_add_f16_e32 v23, v55, v52
	v_add_f16_e32 v58, v14, v25
	v_sub_f16_e32 v14, v25, v14
	v_sub_f16_e32 v25, v52, v55
	v_mov_b32_e32 v52, 0x770
	v_cndmask_b32_e64 v52, 0, v52, s[2:3]
	v_add3_u32 v47, 0, v52, v47
	v_pack_b32_f16 v16, v51, v16
	v_pack_b32_f16 v24, v24, v28
	ds_write2_b32 v47, v16, v24 offset1:68
	v_pack_b32_f16 v16, v61, v62
	v_pack_b32_f16 v24, v65, v66
	ds_write2_b32 v47, v16, v24 offset0:136 offset1:204
	v_pack_b32_f16 v16, v26, v20
	v_pack_b32_f16 v18, v22, v18
	v_add_u32_e32 v20, 0x400, v47
	v_fma_f16 v27, v27, s10, -v67
	ds_write2_b32 v20, v16, v18 offset0:16 offset1:84
	v_pack_b32_f16 v16, v48, v49
	v_fma_f16 v27, v29, s14, v27
	v_sub_f16_e32 v29, v57, v53
	ds_write_b32 v47, v16 offset:1632
	v_mul_u32_u24_e32 v16, 0x770, v60
	v_sub_f16_e32 v59, v50, v19
	v_sub_f16_e32 v64, v56, v27
	v_add_f16_e32 v67, v21, v63
	v_add3_u32 v11, 0, v16, v11
	v_pack_b32_f16 v16, v54, v17
	v_pack_b32_f16 v17, v23, v29
	v_add_f16_e32 v27, v27, v56
	v_sub_f16_e32 v21, v63, v21
	v_add_f16_e32 v19, v19, v50
	ds_write2_b32 v11, v16, v17 offset1:68
	v_pack_b32_f16 v16, v58, v59
	v_pack_b32_f16 v17, v64, v67
	v_add_f16_e32 v50, v53, v57
	ds_write2_b32 v11, v16, v17 offset0:136 offset1:204
	v_pack_b32_f16 v16, v27, v21
	v_pack_b32_f16 v14, v14, v19
	v_add_u32_e32 v17, 0x400, v11
	ds_write2_b32 v17, v16, v14 offset0:16 offset1:84
	v_pack_b32_f16 v14, v25, v50
	ds_write_b32 v11, v14 offset:1632
	s_and_saveexec_b64 s[2:3], s[0:1]
	s_cbranch_execz .LBB0_19
; %bb.18:
	v_lshrrev_b32_e32 v9, 22, v9
	v_mul_lo_u16_e32 v9, 0x44, v9
	v_sub_u16_e32 v1, v1, v9
	v_mul_u32_u24_e32 v9, 6, v1
	v_lshlrev_b32_e32 v9, 2, v9
	global_load_dwordx4 v[16:19], v9, s[8:9] offset:204
	global_load_dwordx2 v[20:21], v9, s[8:9] offset:220
	v_lshl_add_u32 v1, v1, 2, 0
	s_waitcnt vmcnt(1)
	v_mul_f16_sdwa v9, v38, v16 dst_sel:DWORD dst_unused:UNUSED_PAD src0_sel:DWORD src1_sel:WORD_1
	s_waitcnt vmcnt(0)
	v_mul_f16_sdwa v11, v46, v21 dst_sel:DWORD dst_unused:UNUSED_PAD src0_sel:DWORD src1_sel:WORD_1
	v_mul_f16_sdwa v23, v31, v17 dst_sel:DWORD dst_unused:UNUSED_PAD src0_sel:DWORD src1_sel:WORD_1
	;; [unrolled: 1-line block ×11, first 2 shown]
	v_fma_f16 v9, v37, v16, v9
	v_fma_f16 v11, v45, v21, v11
	;; [unrolled: 1-line block ×4, first 2 shown]
	v_fma_f16 v21, v46, v21, -v25
	v_fma_f16 v16, v38, v16, -v26
	;; [unrolled: 1-line block ×4, first 2 shown]
	v_fma_f16 v14, v39, v19, v14
	v_fma_f16 v22, v40, v18, v22
	v_fma_f16 v18, v44, v18, -v27
	v_fma_f16 v19, v41, v19, -v28
	v_sub_f16_e32 v24, v9, v11
	v_sub_f16_e32 v26, v7, v23
	v_add_f16_e32 v27, v16, v21
	v_add_f16_e32 v29, v17, v20
	;; [unrolled: 1-line block ×4, first 2 shown]
	v_sub_f16_e32 v25, v14, v22
	v_add_f16_e32 v28, v18, v19
	v_add_f16_e32 v11, v22, v14
	v_sub_f16_e32 v14, v16, v21
	v_sub_f16_e32 v16, v19, v18
	;; [unrolled: 1-line block ×3, first 2 shown]
	v_add_f16_e32 v23, v29, v27
	v_add_f16_e32 v36, v7, v9
	v_sub_f16_e32 v18, v24, v25
	v_sub_f16_e32 v19, v25, v26
	v_add_f16_e32 v20, v25, v26
	v_sub_f16_e32 v21, v27, v28
	v_sub_f16_e32 v22, v28, v29
	;; [unrolled: 1-line block ×6, first 2 shown]
	v_add_f16_e32 v16, v16, v17
	v_sub_f16_e32 v26, v26, v24
	v_add_f16_e32 v23, v28, v23
	v_add_f16_e32 v11, v11, v36
	v_sub_f16_e32 v27, v29, v27
	v_sub_f16_e32 v7, v7, v9
	;; [unrolled: 1-line block ×3, first 2 shown]
	v_mul_f16_e32 v17, 0x3846, v19
	v_add_f16_e32 v19, v20, v24
	v_mul_f16_e32 v20, 0x3a52, v21
	v_mul_f16_e32 v21, 0x2b26, v22
	;; [unrolled: 1-line block ×5, first 2 shown]
	v_add_f16_e32 v14, v16, v14
	v_mul_f16_e32 v16, 0xbb00, v26
	v_add_f16_sdwa v38, v13, v23 dst_sel:DWORD dst_unused:UNUSED_PAD src0_sel:WORD_1 src1_sel:DWORD
	v_add_f16_e32 v13, v13, v11
	v_mul_f16_e32 v29, 0xbb00, v9
	v_fma_f16 v36, v18, s16, v17
	v_fma_f16 v22, v22, s13, v20
	;; [unrolled: 1-line block ×4, first 2 shown]
	v_fma_f16 v16, v18, s17, -v16
	v_fma_f16 v18, v27, s15, -v20
	;; [unrolled: 1-line block ×3, first 2 shown]
	v_fma_f16 v23, v23, s12, v38
	v_fma_f16 v11, v11, s12, v13
	v_fma_f16 v21, v27, s11, -v21
	v_fma_f16 v17, v26, s10, -v17
	;; [unrolled: 1-line block ×5, first 2 shown]
	v_fma_f16 v29, v19, s14, v36
	v_fma_f16 v36, v14, s14, v39
	;; [unrolled: 1-line block ×3, first 2 shown]
	v_add_f16_e32 v22, v22, v23
	v_add_f16_e32 v31, v31, v11
	;; [unrolled: 1-line block ×4, first 2 shown]
	v_fma_f16 v17, v19, s14, v17
	v_fma_f16 v9, v14, s14, v9
	v_add_f16_e32 v7, v7, v11
	v_fma_f16 v24, v14, s14, v24
	v_add_f16_e32 v20, v20, v11
	v_add_f16_e32 v40, v16, v18
	v_sub_f16_e32 v19, v21, v17
	v_add_f16_e32 v11, v9, v7
	v_add_f16_e32 v14, v17, v21
	v_sub_f16_e32 v7, v7, v9
	v_sub_f16_e32 v9, v18, v16
	;; [unrolled: 1-line block ×3, first 2 shown]
	v_add_f16_e32 v18, v36, v31
	v_add_f16_e32 v16, v24, v20
	v_pack_b32_f16 v13, v13, v38
	v_pack_b32_f16 v17, v18, v17
	v_add_u32_e32 v18, 0x1400, v1
	v_sub_f16_e32 v41, v20, v24
	ds_write2_b32 v18, v13, v17 offset0:148 offset1:216
	v_pack_b32_f16 v9, v16, v9
	v_pack_b32_f16 v7, v7, v14
	v_add_u32_e32 v13, 0x1800, v1
	v_add_f16_e32 v37, v29, v22
	v_sub_f16_e32 v39, v31, v36
	ds_write2_b32 v13, v9, v7 offset0:28 offset1:96
	v_pack_b32_f16 v7, v11, v19
	v_pack_b32_f16 v9, v41, v40
	ds_write2_b32 v13, v7, v9 offset0:164 offset1:232
	v_pack_b32_f16 v7, v39, v37
	ds_write_b32 v1, v7 offset:7344
.LBB0_19:
	s_or_b64 exec, exec, s[2:3]
	v_mul_u32_u24_e32 v1, 3, v6
	v_lshlrev_b32_e32 v14, 2, v1
	s_waitcnt lgkmcnt(0)
	s_barrier
	global_load_dwordx3 v[16:18], v14, s[8:9] offset:1836
	global_load_dwordx3 v[20:22], v14, s[8:9] offset:3264
	s_movk_i32 s0, 0x1000
	v_lshl_add_u64 v[14:15], s[8:9], 0, v[14:15]
	v_add_co_u32_e64 v14, s[0:1], s0, v14
	v_mul_u32_u24_e32 v1, 3, v0
	s_nop 0
	v_addc_co_u32_e64 v15, s[0:1], 0, v15, s[0:1]
	v_lshlrev_b32_e32 v1, 2, v1
	global_load_dwordx3 v[24:26], v[14:15], off offset:596
	global_load_dwordx3 v[36:38], v1, s[8:9] offset:1836
	ds_read2_b32 v[14:15], v30 offset1:119
	v_add_u32_e32 v1, 0xc00, v30
	v_add_u32_e32 v7, 0x1400, v30
	;; [unrolled: 1-line block ×5, first 2 shown]
	ds_read_b32 v19, v30 offset:952
	ds_read_b32 v23, v34
	ds_read_b32 v27, v35
	ds_read_b32 v31, v30 offset:7140
	ds_read2_b32 v[28:29], v1 offset0:65 offset1:184
	ds_read2_b32 v[40:41], v7 offset0:29 offset1:148
	;; [unrolled: 1-line block ×5, first 2 shown]
	s_waitcnt lgkmcnt(7)
	v_lshrrev_b32_e32 v7, 16, v23
	s_waitcnt lgkmcnt(4)
	v_lshrrev_b32_e32 v53, 16, v29
	;; [unrolled: 2-line block ×4, first 2 shown]
	v_lshrrev_b32_e32 v54, 16, v41
	s_waitcnt lgkmcnt(0)
	v_lshrrev_b32_e32 v48, 16, v47
	v_lshrrev_b32_e32 v50, 16, v45
	;; [unrolled: 1-line block ×7, first 2 shown]
	s_barrier
	s_add_u32 s2, s8, 0x1d7c
	s_addc_u32 s3, s9, 0
	v_cmp_ne_u32_e64 s[0:1], 0, v6
	s_waitcnt vmcnt(3)
	v_mul_f16_sdwa v56, v16, v7 dst_sel:DWORD dst_unused:UNUSED_PAD src0_sel:WORD_1 src1_sel:DWORD
	v_mul_f16_sdwa v57, v16, v23 dst_sel:DWORD dst_unused:UNUSED_PAD src0_sel:WORD_1 src1_sel:DWORD
	;; [unrolled: 1-line block ×5, first 2 shown]
	s_waitcnt vmcnt(2)
	v_mul_f16_sdwa v64, v11, v21 dst_sel:DWORD dst_unused:UNUSED_PAD src0_sel:DWORD src1_sel:WORD_1
	v_mul_f16_sdwa v65, v42, v21 dst_sel:DWORD dst_unused:UNUSED_PAD src0_sel:DWORD src1_sel:WORD_1
	v_mul_f16_sdwa v66, v39, v22 dst_sel:DWORD dst_unused:UNUSED_PAD src0_sel:DWORD src1_sel:WORD_1
	v_mul_f16_sdwa v67, v44, v22 dst_sel:DWORD dst_unused:UNUSED_PAD src0_sel:DWORD src1_sel:WORD_1
	v_mul_f16_sdwa v59, v17, v29 dst_sel:DWORD dst_unused:UNUSED_PAD src0_sel:WORD_1 src1_sel:DWORD
	v_mul_f16_sdwa v62, v20, v55 dst_sel:DWORD dst_unused:UNUSED_PAD src0_sel:WORD_1 src1_sel:DWORD
	;; [unrolled: 1-line block ×3, first 2 shown]
	v_fma_f16 v23, v16, v23, v56
	v_fma_f16 v7, v16, v7, -v57
	v_fma_f16 v16, v17, v29, v58
	v_fma_f16 v29, v18, v41, v60
	v_fma_f16 v18, v18, v54, -v61
	v_fma_f16 v42, v42, v21, v64
	v_fma_f16 v11, v11, v21, -v65
	;; [unrolled: 2-line block ×3, first 2 shown]
	s_waitcnt vmcnt(1)
	v_mul_f16_sdwa v39, v48, v24 dst_sel:DWORD dst_unused:UNUSED_PAD src0_sel:DWORD src1_sel:WORD_1
	v_mul_f16_sdwa v44, v47, v24 dst_sel:DWORD dst_unused:UNUSED_PAD src0_sel:DWORD src1_sel:WORD_1
	;; [unrolled: 1-line block ×3, first 2 shown]
	s_waitcnt vmcnt(0)
	v_mul_f16_sdwa v58, v52, v37 dst_sel:DWORD dst_unused:UNUSED_PAD src0_sel:DWORD src1_sel:WORD_1
	v_fma_f16 v41, v20, v46, v62
	v_fma_f16 v20, v20, v55, -v63
	v_mul_f16_sdwa v55, v45, v26 dst_sel:DWORD dst_unused:UNUSED_PAD src0_sel:DWORD src1_sel:WORD_1
	v_fma_f16 v39, v47, v24, v39
	v_fma_f16 v24, v48, v24, -v44
	v_fma_f16 v44, v45, v26, v54
	v_fma_f16 v45, v40, v37, v58
	v_mul_f16_sdwa v40, v40, v37 dst_sel:DWORD dst_unused:UNUSED_PAD src0_sel:DWORD src1_sel:WORD_1
	v_fma_f16 v37, v52, v37, -v40
	v_mul_f16_sdwa v40, v1, v38 dst_sel:DWORD dst_unused:UNUSED_PAD src0_sel:DWORD src1_sel:WORD_1
	v_fma_f16 v40, v31, v38, v40
	v_mul_f16_sdwa v31, v31, v38 dst_sel:DWORD dst_unused:UNUSED_PAD src0_sel:DWORD src1_sel:WORD_1
	v_fma_f16 v17, v17, v53, -v59
	v_fma_f16 v1, v1, v38, -v31
	v_lshrrev_b32_e32 v31, 16, v14
	v_lshrrev_b32_e32 v38, 16, v15
	v_mul_f16_sdwa v46, v49, v25 dst_sel:DWORD dst_unused:UNUSED_PAD src0_sel:DWORD src1_sel:WORD_1
	v_mul_f16_sdwa v53, v43, v25 dst_sel:DWORD dst_unused:UNUSED_PAD src0_sel:DWORD src1_sel:WORD_1
	v_sub_f16_e32 v16, v14, v16
	v_sub_f16_e32 v17, v31, v17
	;; [unrolled: 1-line block ×8, first 2 shown]
	v_fma_f16 v43, v43, v25, v46
	v_fma_f16 v25, v49, v25, -v53
	v_fma_f16 v26, v50, v26, -v55
	v_fma_f16 v14, v14, 2.0, -v16
	v_fma_f16 v31, v31, 2.0, -v17
	;; [unrolled: 1-line block ×8, first 2 shown]
	v_lshrrev_b32_e32 v46, 16, v19
	v_sub_f16_e32 v23, v14, v23
	v_sub_f16_e32 v7, v31, v7
	;; [unrolled: 1-line block ×8, first 2 shown]
	v_fma_f16 v14, v14, 2.0, -v23
	v_fma_f16 v31, v31, 2.0, -v7
	;; [unrolled: 1-line block ×8, first 2 shown]
	v_mul_f16_sdwa v56, v51, v36 dst_sel:DWORD dst_unused:UNUSED_PAD src0_sel:DWORD src1_sel:WORD_1
	v_mul_f16_sdwa v57, v28, v36 dst_sel:DWORD dst_unused:UNUSED_PAD src0_sel:DWORD src1_sel:WORD_1
	v_add_f16_e32 v18, v16, v18
	v_sub_f16_e32 v29, v17, v29
	v_sub_f16_e32 v39, v19, v39
	;; [unrolled: 1-line block ×3, first 2 shown]
	v_pack_b32_f16 v14, v14, v31
	v_pack_b32_f16 v15, v15, v38
	v_fma_f16 v28, v28, v36, v56
	v_fma_f16 v36, v51, v36, -v57
	v_fma_f16 v16, v16, 2.0, -v18
	v_fma_f16 v17, v17, 2.0, -v29
	v_add_f16_e32 v22, v42, v22
	v_sub_f16_e32 v21, v11, v21
	v_fma_f16 v19, v19, 2.0, -v39
	v_fma_f16 v46, v46, 2.0, -v24
	v_add_f16_e32 v26, v43, v26
	v_sub_f16_e32 v44, v25, v44
	v_lshrrev_b32_e32 v47, 16, v27
	v_pack_b32_f16 v7, v23, v7
	ds_write2_b32 v30, v14, v15 offset1:119
	v_pack_b32_f16 v14, v41, v20
	v_add_u32_e32 v15, 0xe00, v30
	v_fma_f16 v42, v42, 2.0, -v22
	v_fma_f16 v11, v11, 2.0, -v21
	v_fma_f16 v43, v43, 2.0, -v26
	v_fma_f16 v25, v25, 2.0, -v44
	v_sub_f16_e32 v45, v27, v45
	v_sub_f16_e32 v37, v47, v37
	;; [unrolled: 1-line block ×4, first 2 shown]
	v_pack_b32_f16 v16, v16, v17
	ds_write2_b32 v15, v7, v14 offset0:56 offset1:175
	v_pack_b32_f16 v14, v19, v46
	v_add_u32_e32 v15, 0x380, v30
	v_fma_f16 v27, v27, 2.0, -v45
	v_fma_f16 v47, v47, 2.0, -v37
	;; [unrolled: 1-line block ×4, first 2 shown]
	v_pack_b32_f16 v11, v42, v11
	ds_write2_b32 v15, v14, v16 offset0:14 offset1:252
	v_pack_b32_f16 v14, v43, v25
	v_sub_f16_e32 v28, v27, v28
	v_sub_f16_e32 v36, v47, v36
	v_pack_b32_f16 v17, v18, v29
	ds_write2_b32 v9, v11, v14 offset0:83 offset1:202
	v_pack_b32_f16 v9, v39, v24
	v_add_u32_e32 v11, 0x1280, v30
	v_fma_f16 v27, v27, 2.0, -v28
	v_fma_f16 v47, v47, 2.0, -v36
	v_add_f16_e32 v1, v45, v1
	v_sub_f16_e32 v40, v37, v40
	v_pack_b32_f16 v7, v22, v21
	ds_write2_b32 v11, v9, v17 offset0:6 offset1:244
	v_pack_b32_f16 v9, v26, v44
	v_fma_f16 v45, v45, 2.0, -v1
	v_fma_f16 v37, v37, 2.0, -v40
	ds_write2_b32 v13, v7, v9 offset0:11 offset1:130
	v_pack_b32_f16 v7, v27, v47
	ds_write_b32 v35, v7
	v_pack_b32_f16 v7, v45, v37
	ds_write_b32 v35, v7 offset:1904
	v_pack_b32_f16 v7, v28, v36
	v_pack_b32_f16 v1, v1, v40
	ds_write_b32 v35, v7 offset:3808
	ds_write_b32 v35, v1 offset:5712
	s_waitcnt lgkmcnt(0)
	s_barrier
	ds_read_b32 v1, v30
	v_lshlrev_b32_e32 v7, 2, v6
	v_sub_u32_e32 v16, 0, v7
                                        ; implicit-def: $vgpr13
                                        ; implicit-def: $vgpr9
                                        ; implicit-def: $vgpr11
                                        ; implicit-def: $vgpr14_vgpr15
	s_and_saveexec_b64 s[8:9], s[0:1]
	s_xor_b64 s[0:1], exec, s[8:9]
	s_cbranch_execz .LBB0_21
; %bb.20:
	v_mov_b32_e32 v7, 0
	v_lshl_add_u64 v[14:15], v[6:7], 2, s[2:3]
	global_load_dword v9, v[14:15], off
	ds_read_b32 v11, v16 offset:7616
	s_mov_b32 s8, 0xffff
	s_waitcnt lgkmcnt(0)
	v_pk_add_f16 v13, v1, v11 neg_lo:[0,1] neg_hi:[0,1]
	v_pk_add_f16 v1, v11, v1
	s_nop 0
	v_bfi_b32 v11, s8, v13, v1
	v_pk_mul_f16 v11, v11, 0.5 op_sel_hi:[1,0]
	v_bfi_b32 v1, s8, v1, v13
	v_pk_mul_f16 v13, v1, 0.5 op_sel_hi:[1,0]
	s_waitcnt vmcnt(0)
	v_pk_mul_f16 v14, v9, v11 op_sel:[1,0]
	v_pk_mul_f16 v11, v9, v11 op_sel_hi:[0,1]
	v_pk_fma_f16 v1, v1, 0.5, v14 op_sel_hi:[1,0,1]
	v_sub_f16_e32 v9, v13, v14
	v_sub_f16_sdwa v13, v14, v13 dst_sel:DWORD dst_unused:UNUSED_PAD src0_sel:WORD_1 src1_sel:WORD_1
	v_pk_add_f16 v14, v1, v11 op_sel:[0,1] op_sel_hi:[1,0]
	v_pk_add_f16 v1, v1, v11 op_sel:[0,1] op_sel_hi:[1,0] neg_lo:[0,1] neg_hi:[0,1]
	v_sub_f16_sdwa v9, v9, v11 dst_sel:DWORD dst_unused:UNUSED_PAD src0_sel:DWORD src1_sel:WORD_1
	v_sub_f16_e32 v11, v13, v11
	v_bfi_b32 v13, s8, v14, v1
	v_mov_b64_e32 v[14:15], v[6:7]
                                        ; implicit-def: $vgpr1
.LBB0_21:
	s_andn2_saveexec_b64 s[0:1], s[0:1]
	s_cbranch_execz .LBB0_23
; %bb.22:
	v_mov_b32_e32 v11, 0
	ds_read_u16 v7, v11 offset:3810
	s_waitcnt lgkmcnt(1)
	v_alignbit_b32 v13, s0, v1, 16
	v_sub_f16_sdwa v9, v1, v1 dst_sel:DWORD dst_unused:UNUSED_PAD src0_sel:DWORD src1_sel:WORD_1
	v_pk_add_f16 v1, v13, v1
	v_mov_b64_e32 v[14:15], 0
	v_pack_b32_f16 v13, v1, 0
	s_waitcnt lgkmcnt(0)
	v_xor_b32_e32 v1, 0x8000, v7
	ds_write_b16 v11, v1 offset:3810
.LBB0_23:
	s_or_b64 exec, exec, s[0:1]
	v_lshl_add_u64 v[14:15], v[14:15], 2, s[2:3]
	global_load_dword v7, v[14:15], off offset:476
	global_load_dword v17, v[14:15], off offset:952
	s_waitcnt lgkmcnt(0)
	v_mov_b32_e32 v1, 0
	v_lshl_add_u64 v[18:19], v[0:1], 2, s[2:3]
	global_load_dword v0, v[18:19], off
	ds_write_b16 v16, v11 offset:7618
	ds_write_b32 v30, v13
	ds_write_b16 v16, v9 offset:7616
	v_mov_b32_e32 v9, v1
	v_mov_b32_e32 v13, v1
	;; [unrolled: 1-line block ×3, first 2 shown]
	v_lshl_add_u64 v[8:9], v[8:9], 2, s[2:3]
	ds_read_b32 v18, v30 offset:476
	ds_read_b32 v19, v16 offset:7140
	v_lshl_add_u64 v[12:13], v[12:13], 2, s[2:3]
	v_lshl_add_u64 v[10:11], v[10:11], 2, s[2:3]
	global_load_dword v20, v[8:9], off
	global_load_dword v21, v[12:13], off
	;; [unrolled: 1-line block ×3, first 2 shown]
	global_load_dword v23, v[14:15], off offset:3332
	s_mov_b32 s0, 0xffff
	s_waitcnt lgkmcnt(0)
	v_pk_add_f16 v8, v18, v19 neg_lo:[0,1] neg_hi:[0,1]
	v_pk_add_f16 v9, v18, v19
	s_nop 0
	v_bfi_b32 v10, s0, v8, v9
	v_bfi_b32 v8, s0, v9, v8
	v_pk_mul_f16 v9, v10, 0.5 op_sel_hi:[1,0]
	v_pk_mul_f16 v10, v8, 0.5 op_sel_hi:[1,0]
	s_waitcnt vmcnt(6)
	v_pk_mul_f16 v11, v7, v9 op_sel:[1,0]
	v_pk_mul_f16 v7, v7, v9 op_sel_hi:[0,1]
	v_pk_fma_f16 v8, v8, 0.5, v11 op_sel_hi:[1,0,1]
	v_sub_f16_e32 v9, v10, v11
	v_sub_f16_sdwa v10, v11, v10 dst_sel:DWORD dst_unused:UNUSED_PAD src0_sel:WORD_1 src1_sel:WORD_1
	v_pk_add_f16 v11, v8, v7 op_sel:[0,1] op_sel_hi:[1,0]
	v_pk_add_f16 v8, v8, v7 op_sel:[0,1] op_sel_hi:[1,0] neg_lo:[0,1] neg_hi:[0,1]
	v_sub_f16_sdwa v9, v9, v7 dst_sel:DWORD dst_unused:UNUSED_PAD src0_sel:DWORD src1_sel:WORD_1
	v_sub_f16_e32 v7, v10, v7
	v_bfi_b32 v8, s0, v11, v8
	ds_write_b16 v16, v7 offset:7142
	ds_write_b32 v30, v8 offset:476
	ds_write_b16 v16, v9 offset:7140
	ds_read_b32 v7, v30 offset:952
	ds_read_b32 v8, v16 offset:6664
	s_waitcnt lgkmcnt(0)
	v_pk_add_f16 v9, v7, v8 neg_lo:[0,1] neg_hi:[0,1]
	v_pk_add_f16 v7, v7, v8
	s_nop 0
	v_bfi_b32 v8, s0, v9, v7
	v_bfi_b32 v7, s0, v7, v9
	v_pk_mul_f16 v8, v8, 0.5 op_sel_hi:[1,0]
	v_pk_mul_f16 v9, v7, 0.5 op_sel_hi:[1,0]
	s_waitcnt vmcnt(5)
	v_pk_mul_f16 v10, v17, v8 op_sel:[1,0]
	v_pk_mul_f16 v8, v17, v8 op_sel_hi:[0,1]
	v_pk_fma_f16 v7, v7, 0.5, v10 op_sel_hi:[1,0,1]
	v_sub_f16_e32 v11, v9, v10
	v_sub_f16_sdwa v9, v10, v9 dst_sel:DWORD dst_unused:UNUSED_PAD src0_sel:WORD_1 src1_sel:WORD_1
	v_pk_add_f16 v10, v7, v8 op_sel:[0,1] op_sel_hi:[1,0]
	v_pk_add_f16 v7, v7, v8 op_sel:[0,1] op_sel_hi:[1,0] neg_lo:[0,1] neg_hi:[0,1]
	v_sub_f16_sdwa v11, v11, v8 dst_sel:DWORD dst_unused:UNUSED_PAD src0_sel:DWORD src1_sel:WORD_1
	v_sub_f16_e32 v8, v9, v8
	v_bfi_b32 v7, s0, v10, v7
	ds_write_b16 v16, v8 offset:6666
	ds_write_b32 v30, v7 offset:952
	ds_write_b16 v16, v11 offset:6664
	ds_read_b32 v7, v35
	ds_read_b32 v8, v16 offset:6188
	s_waitcnt lgkmcnt(0)
	v_pk_add_f16 v9, v7, v8 neg_lo:[0,1] neg_hi:[0,1]
	v_pk_add_f16 v7, v7, v8
	s_nop 0
	v_bfi_b32 v8, s0, v9, v7
	v_bfi_b32 v7, s0, v7, v9
	v_pk_mul_f16 v8, v8, 0.5 op_sel_hi:[1,0]
	v_pk_mul_f16 v9, v7, 0.5 op_sel_hi:[1,0]
	s_waitcnt vmcnt(4)
	v_pk_mul_f16 v10, v0, v8 op_sel:[1,0]
	v_pk_mul_f16 v0, v0, v8 op_sel_hi:[0,1]
	v_pk_fma_f16 v7, v7, 0.5, v10 op_sel_hi:[1,0,1]
	v_sub_f16_e32 v8, v9, v10
	v_sub_f16_sdwa v9, v10, v9 dst_sel:DWORD dst_unused:UNUSED_PAD src0_sel:WORD_1 src1_sel:WORD_1
	v_pk_add_f16 v10, v7, v0 op_sel:[0,1] op_sel_hi:[1,0]
	v_pk_add_f16 v7, v7, v0 op_sel:[0,1] op_sel_hi:[1,0] neg_lo:[0,1] neg_hi:[0,1]
	v_sub_f16_sdwa v8, v8, v0 dst_sel:DWORD dst_unused:UNUSED_PAD src0_sel:DWORD src1_sel:WORD_1
	v_sub_f16_e32 v0, v9, v0
	v_bfi_b32 v7, s0, v10, v7
	ds_write_b16 v16, v0 offset:6190
	ds_write_b32 v35, v7
	ds_write_b16 v16, v8 offset:6188
	ds_read_b32 v0, v34
	ds_read_b32 v7, v16 offset:5712
	s_waitcnt lgkmcnt(0)
	v_pk_add_f16 v8, v0, v7 neg_lo:[0,1] neg_hi:[0,1]
	v_pk_add_f16 v0, v0, v7
	s_nop 0
	v_bfi_b32 v7, s0, v8, v0
	v_bfi_b32 v0, s0, v0, v8
	v_pk_mul_f16 v7, v7, 0.5 op_sel_hi:[1,0]
	v_pk_mul_f16 v8, v0, 0.5 op_sel_hi:[1,0]
	s_waitcnt vmcnt(3)
	v_pk_mul_f16 v9, v20, v7 op_sel:[1,0]
	v_pk_mul_f16 v7, v20, v7 op_sel_hi:[0,1]
	v_pk_fma_f16 v0, v0, 0.5, v9 op_sel_hi:[1,0,1]
	v_sub_f16_e32 v10, v8, v9
	v_sub_f16_sdwa v8, v9, v8 dst_sel:DWORD dst_unused:UNUSED_PAD src0_sel:WORD_1 src1_sel:WORD_1
	v_pk_add_f16 v9, v0, v7 op_sel:[0,1] op_sel_hi:[1,0]
	v_pk_add_f16 v0, v0, v7 op_sel:[0,1] op_sel_hi:[1,0] neg_lo:[0,1] neg_hi:[0,1]
	v_sub_f16_sdwa v10, v10, v7 dst_sel:DWORD dst_unused:UNUSED_PAD src0_sel:DWORD src1_sel:WORD_1
	v_sub_f16_e32 v7, v8, v7
	v_bfi_b32 v0, s0, v9, v0
	ds_write_b16 v16, v7 offset:5714
	ds_write_b32 v34, v0
	ds_write_b16 v16, v10 offset:5712
	ds_read_b32 v0, v33
	ds_read_b32 v7, v16 offset:5236
	s_waitcnt lgkmcnt(0)
	v_pk_add_f16 v8, v0, v7 neg_lo:[0,1] neg_hi:[0,1]
	v_pk_add_f16 v0, v0, v7
	s_nop 0
	v_bfi_b32 v7, s0, v8, v0
	v_bfi_b32 v0, s0, v0, v8
	v_pk_mul_f16 v7, v7, 0.5 op_sel_hi:[1,0]
	v_pk_mul_f16 v8, v0, 0.5 op_sel_hi:[1,0]
	s_waitcnt vmcnt(2)
	v_pk_mul_f16 v9, v21, v7 op_sel:[1,0]
	v_pk_mul_f16 v7, v21, v7 op_sel_hi:[0,1]
	v_pk_fma_f16 v0, v0, 0.5, v9 op_sel_hi:[1,0,1]
	v_sub_f16_e32 v10, v8, v9
	v_sub_f16_sdwa v8, v9, v8 dst_sel:DWORD dst_unused:UNUSED_PAD src0_sel:WORD_1 src1_sel:WORD_1
	v_pk_add_f16 v9, v0, v7 op_sel:[0,1] op_sel_hi:[1,0]
	v_pk_add_f16 v0, v0, v7 op_sel:[0,1] op_sel_hi:[1,0] neg_lo:[0,1] neg_hi:[0,1]
	v_sub_f16_sdwa v10, v10, v7 dst_sel:DWORD dst_unused:UNUSED_PAD src0_sel:DWORD src1_sel:WORD_1
	v_sub_f16_e32 v7, v8, v7
	v_bfi_b32 v0, s0, v9, v0
	ds_write_b16 v16, v7 offset:5238
	ds_write_b32 v33, v0
	ds_write_b16 v16, v10 offset:5236
	ds_read_b32 v0, v32
	ds_read_b32 v7, v16 offset:4760
	s_waitcnt lgkmcnt(0)
	v_pk_add_f16 v8, v0, v7 neg_lo:[0,1] neg_hi:[0,1]
	v_pk_add_f16 v0, v0, v7
	s_nop 0
	v_bfi_b32 v7, s0, v8, v0
	v_bfi_b32 v0, s0, v0, v8
	v_pk_mul_f16 v7, v7, 0.5 op_sel_hi:[1,0]
	v_pk_mul_f16 v8, v0, 0.5 op_sel_hi:[1,0]
	s_waitcnt vmcnt(1)
	v_pk_mul_f16 v9, v22, v7 op_sel:[1,0]
	v_pk_mul_f16 v7, v22, v7 op_sel_hi:[0,1]
	v_pk_fma_f16 v0, v0, 0.5, v9 op_sel_hi:[1,0,1]
	v_sub_f16_e32 v10, v8, v9
	v_sub_f16_sdwa v8, v9, v8 dst_sel:DWORD dst_unused:UNUSED_PAD src0_sel:WORD_1 src1_sel:WORD_1
	v_pk_add_f16 v9, v0, v7 op_sel:[0,1] op_sel_hi:[1,0]
	v_pk_add_f16 v0, v0, v7 op_sel:[0,1] op_sel_hi:[1,0] neg_lo:[0,1] neg_hi:[0,1]
	v_sub_f16_sdwa v10, v10, v7 dst_sel:DWORD dst_unused:UNUSED_PAD src0_sel:DWORD src1_sel:WORD_1
	v_sub_f16_e32 v7, v8, v7
	v_bfi_b32 v0, s0, v9, v0
	ds_write_b16 v16, v7 offset:4762
	ds_write_b32 v32, v0
	ds_write_b16 v16, v10 offset:4760
	ds_read_b32 v0, v30 offset:3332
	ds_read_b32 v7, v16 offset:4284
	s_waitcnt lgkmcnt(0)
	v_pk_add_f16 v8, v0, v7 neg_lo:[0,1] neg_hi:[0,1]
	v_pk_add_f16 v0, v0, v7
	s_nop 0
	v_bfi_b32 v7, s0, v8, v0
	v_bfi_b32 v0, s0, v0, v8
	v_pk_mul_f16 v7, v7, 0.5 op_sel_hi:[1,0]
	v_pk_mul_f16 v0, v0, 0.5 op_sel_hi:[1,0]
	s_waitcnt vmcnt(0)
	v_pk_mul_f16 v9, v23, v7 op_sel_hi:[0,1]
	v_pk_fma_f16 v8, v23, v7, v0 op_sel:[1,0,0]
	v_pk_fma_f16 v10, v23, v7, v0 op_sel:[1,0,0] neg_lo:[1,0,0] neg_hi:[1,0,0]
	v_pk_fma_f16 v0, v23, v7, v0 op_sel:[1,0,0] neg_lo:[0,0,1] neg_hi:[0,0,1]
	v_pk_add_f16 v7, v8, v9 op_sel:[0,1] op_sel_hi:[1,0]
	v_pk_add_f16 v8, v8, v9 op_sel:[0,1] op_sel_hi:[1,0] neg_lo:[0,1] neg_hi:[0,1]
	v_pk_add_f16 v10, v10, v9 op_sel:[0,1] op_sel_hi:[1,0] neg_lo:[0,1] neg_hi:[0,1]
	v_pk_add_f16 v0, v0, v9 op_sel:[0,1] op_sel_hi:[1,0] neg_lo:[0,1] neg_hi:[0,1]
	v_bfi_b32 v7, s0, v7, v8
	v_bfi_b32 v0, s0, v10, v0
	ds_write_b32 v30, v7 offset:3332
	ds_write_b32 v16, v0 offset:4284
	s_waitcnt lgkmcnt(0)
	s_barrier
	s_and_saveexec_b64 s[0:1], vcc
	s_cbranch_execz .LBB0_26
; %bb.24:
	v_lshl_add_u32 v12, v6, 2, 0
	v_mul_lo_u32 v0, s5, v4
	v_mul_lo_u32 v7, s4, v5
	v_mad_u64_u32 v[4:5], s[0:1], s4, v4, 0
	ds_read2_b32 v[8:9], v12 offset1:119
	v_add3_u32 v5, v5, v7, v0
	v_lshl_add_u64 v[4:5], v[4:5], 2, s[6:7]
	v_mov_b32_e32 v7, v1
	v_lshl_add_u64 v[2:3], v[2:3], 2, v[4:5]
	v_lshl_add_u64 v[4:5], v[6:7], 2, v[2:3]
	s_waitcnt lgkmcnt(0)
	global_store_dword v[4:5], v8, off
	v_add_u32_e32 v4, 0x200, v12
	ds_read2_b32 v[4:5], v4 offset0:110 offset1:229
	v_add_u32_e32 v0, 0x77, v6
	v_lshl_add_u64 v[10:11], v[0:1], 2, v[2:3]
	v_add_u32_e32 v0, 0xee, v6
	global_store_dword v[10:11], v9, off
	v_lshl_add_u64 v[8:9], v[0:1], 2, v[2:3]
	s_waitcnt lgkmcnt(0)
	global_store_dword v[8:9], v4, off
	v_add_u32_e32 v4, 0x600, v12
	ds_read2_b32 v[8:9], v4 offset0:92 offset1:211
	v_add_u32_e32 v0, 0x165, v6
	v_lshl_add_u64 v[10:11], v[0:1], 2, v[2:3]
	v_add_u32_e32 v0, 0x1dc, v6
	global_store_dword v[10:11], v5, off
	v_lshl_add_u64 v[4:5], v[0:1], 2, v[2:3]
	s_waitcnt lgkmcnt(0)
	global_store_dword v[4:5], v8, off
	v_add_u32_e32 v4, 0xa00, v12
	ds_read2_b32 v[4:5], v4 offset0:74 offset1:193
	v_add_u32_e32 v0, 0x253, v6
	v_lshl_add_u64 v[10:11], v[0:1], 2, v[2:3]
	v_add_u32_e32 v0, 0x2ca, v6
	global_store_dword v[10:11], v9, off
	v_lshl_add_u64 v[8:9], v[0:1], 2, v[2:3]
	s_waitcnt lgkmcnt(0)
	global_store_dword v[8:9], v4, off
	v_add_u32_e32 v4, 0xe00, v12
	ds_read2_b32 v[8:9], v4 offset0:56 offset1:175
	v_add_u32_e32 v0, 0x341, v6
	v_lshl_add_u64 v[10:11], v[0:1], 2, v[2:3]
	v_add_u32_e32 v0, 0x3b8, v6
	global_store_dword v[10:11], v5, off
	v_lshl_add_u64 v[4:5], v[0:1], 2, v[2:3]
	s_waitcnt lgkmcnt(0)
	global_store_dword v[4:5], v8, off
	v_add_u32_e32 v4, 0x1200, v12
	ds_read2_b32 v[4:5], v4 offset0:38 offset1:157
	v_add_u32_e32 v0, 0x42f, v6
	v_lshl_add_u64 v[10:11], v[0:1], 2, v[2:3]
	v_add_u32_e32 v0, 0x4a6, v6
	global_store_dword v[10:11], v9, off
	v_lshl_add_u64 v[8:9], v[0:1], 2, v[2:3]
	s_waitcnt lgkmcnt(0)
	global_store_dword v[8:9], v4, off
	v_add_u32_e32 v4, 0x1600, v12
	ds_read2_b32 v[8:9], v4 offset0:20 offset1:139
	v_add_u32_e32 v0, 0x51d, v6
	v_lshl_add_u64 v[10:11], v[0:1], 2, v[2:3]
	v_add_u32_e32 v0, 0x594, v6
	global_store_dword v[10:11], v5, off
	v_lshl_add_u64 v[4:5], v[0:1], 2, v[2:3]
	s_waitcnt lgkmcnt(0)
	global_store_dword v[4:5], v8, off
	v_add_u32_e32 v4, 0x1800, v12
	ds_read2_b32 v[4:5], v4 offset0:130 offset1:249
	v_add_u32_e32 v0, 0x60b, v6
	v_lshl_add_u64 v[10:11], v[0:1], 2, v[2:3]
	v_add_u32_e32 v0, 0x682, v6
	global_store_dword v[10:11], v9, off
	v_lshl_add_u64 v[8:9], v[0:1], 2, v[2:3]
	v_add_u32_e32 v0, 0x6f9, v6
	s_movk_i32 s0, 0x76
	v_lshl_add_u64 v[0:1], v[0:1], 2, v[2:3]
	v_cmp_eq_u32_e32 vcc, s0, v6
	s_waitcnt lgkmcnt(0)
	global_store_dword v[8:9], v4, off
	global_store_dword v[0:1], v5, off
	s_and_b64 exec, exec, vcc
	s_cbranch_execz .LBB0_26
; %bb.25:
	v_mov_b32_e32 v0, 0
	ds_read_b32 v4, v0 offset:7616
	v_add_co_u32_e32 v0, vcc, 0x1000, v2
	s_nop 1
	v_addc_co_u32_e32 v1, vcc, 0, v3, vcc
	s_waitcnt lgkmcnt(0)
	global_store_dword v[0:1], v4, off offset:3520
.LBB0_26:
	s_endpgm
	.section	.rodata,"a",@progbits
	.p2align	6, 0x0
	.amdhsa_kernel fft_rtc_back_len1904_factors_17_2_2_7_4_wgs_119_tpt_119_halfLds_half_op_CI_CI_unitstride_sbrr_R2C_dirReg
		.amdhsa_group_segment_fixed_size 0
		.amdhsa_private_segment_fixed_size 0
		.amdhsa_kernarg_size 104
		.amdhsa_user_sgpr_count 2
		.amdhsa_user_sgpr_dispatch_ptr 0
		.amdhsa_user_sgpr_queue_ptr 0
		.amdhsa_user_sgpr_kernarg_segment_ptr 1
		.amdhsa_user_sgpr_dispatch_id 0
		.amdhsa_user_sgpr_kernarg_preload_length 0
		.amdhsa_user_sgpr_kernarg_preload_offset 0
		.amdhsa_user_sgpr_private_segment_size 0
		.amdhsa_uses_dynamic_stack 0
		.amdhsa_enable_private_segment 0
		.amdhsa_system_sgpr_workgroup_id_x 1
		.amdhsa_system_sgpr_workgroup_id_y 0
		.amdhsa_system_sgpr_workgroup_id_z 0
		.amdhsa_system_sgpr_workgroup_info 0
		.amdhsa_system_vgpr_workitem_id 0
		.amdhsa_next_free_vgpr 171
		.amdhsa_next_free_sgpr 30
		.amdhsa_accum_offset 172
		.amdhsa_reserve_vcc 1
		.amdhsa_float_round_mode_32 0
		.amdhsa_float_round_mode_16_64 0
		.amdhsa_float_denorm_mode_32 3
		.amdhsa_float_denorm_mode_16_64 3
		.amdhsa_dx10_clamp 1
		.amdhsa_ieee_mode 1
		.amdhsa_fp16_overflow 0
		.amdhsa_tg_split 0
		.amdhsa_exception_fp_ieee_invalid_op 0
		.amdhsa_exception_fp_denorm_src 0
		.amdhsa_exception_fp_ieee_div_zero 0
		.amdhsa_exception_fp_ieee_overflow 0
		.amdhsa_exception_fp_ieee_underflow 0
		.amdhsa_exception_fp_ieee_inexact 0
		.amdhsa_exception_int_div_zero 0
	.end_amdhsa_kernel
	.text
.Lfunc_end0:
	.size	fft_rtc_back_len1904_factors_17_2_2_7_4_wgs_119_tpt_119_halfLds_half_op_CI_CI_unitstride_sbrr_R2C_dirReg, .Lfunc_end0-fft_rtc_back_len1904_factors_17_2_2_7_4_wgs_119_tpt_119_halfLds_half_op_CI_CI_unitstride_sbrr_R2C_dirReg
                                        ; -- End function
	.section	.AMDGPU.csdata,"",@progbits
; Kernel info:
; codeLenInByte = 14864
; NumSgprs: 36
; NumVgprs: 171
; NumAgprs: 0
; TotalNumVgprs: 171
; ScratchSize: 0
; MemoryBound: 0
; FloatMode: 240
; IeeeMode: 1
; LDSByteSize: 0 bytes/workgroup (compile time only)
; SGPRBlocks: 4
; VGPRBlocks: 21
; NumSGPRsForWavesPerEU: 36
; NumVGPRsForWavesPerEU: 171
; AccumOffset: 172
; Occupancy: 2
; WaveLimiterHint : 1
; COMPUTE_PGM_RSRC2:SCRATCH_EN: 0
; COMPUTE_PGM_RSRC2:USER_SGPR: 2
; COMPUTE_PGM_RSRC2:TRAP_HANDLER: 0
; COMPUTE_PGM_RSRC2:TGID_X_EN: 1
; COMPUTE_PGM_RSRC2:TGID_Y_EN: 0
; COMPUTE_PGM_RSRC2:TGID_Z_EN: 0
; COMPUTE_PGM_RSRC2:TIDIG_COMP_CNT: 0
; COMPUTE_PGM_RSRC3_GFX90A:ACCUM_OFFSET: 42
; COMPUTE_PGM_RSRC3_GFX90A:TG_SPLIT: 0
	.text
	.p2alignl 6, 3212836864
	.fill 256, 4, 3212836864
	.type	__hip_cuid_9153e647d3ce144e,@object ; @__hip_cuid_9153e647d3ce144e
	.section	.bss,"aw",@nobits
	.globl	__hip_cuid_9153e647d3ce144e
__hip_cuid_9153e647d3ce144e:
	.byte	0                               ; 0x0
	.size	__hip_cuid_9153e647d3ce144e, 1

	.ident	"AMD clang version 19.0.0git (https://github.com/RadeonOpenCompute/llvm-project roc-6.4.0 25133 c7fe45cf4b819c5991fe208aaa96edf142730f1d)"
	.section	".note.GNU-stack","",@progbits
	.addrsig
	.addrsig_sym __hip_cuid_9153e647d3ce144e
	.amdgpu_metadata
---
amdhsa.kernels:
  - .agpr_count:     0
    .args:
      - .actual_access:  read_only
        .address_space:  global
        .offset:         0
        .size:           8
        .value_kind:     global_buffer
      - .offset:         8
        .size:           8
        .value_kind:     by_value
      - .actual_access:  read_only
        .address_space:  global
        .offset:         16
        .size:           8
        .value_kind:     global_buffer
      - .actual_access:  read_only
        .address_space:  global
        .offset:         24
        .size:           8
        .value_kind:     global_buffer
      - .actual_access:  read_only
        .address_space:  global
        .offset:         32
        .size:           8
        .value_kind:     global_buffer
      - .offset:         40
        .size:           8
        .value_kind:     by_value
      - .actual_access:  read_only
        .address_space:  global
        .offset:         48
        .size:           8
        .value_kind:     global_buffer
      - .actual_access:  read_only
        .address_space:  global
        .offset:         56
        .size:           8
        .value_kind:     global_buffer
      - .offset:         64
        .size:           4
        .value_kind:     by_value
      - .actual_access:  read_only
        .address_space:  global
        .offset:         72
        .size:           8
        .value_kind:     global_buffer
      - .actual_access:  read_only
        .address_space:  global
        .offset:         80
        .size:           8
        .value_kind:     global_buffer
      - .actual_access:  read_only
        .address_space:  global
        .offset:         88
        .size:           8
        .value_kind:     global_buffer
      - .actual_access:  write_only
        .address_space:  global
        .offset:         96
        .size:           8
        .value_kind:     global_buffer
    .group_segment_fixed_size: 0
    .kernarg_segment_align: 8
    .kernarg_segment_size: 104
    .language:       OpenCL C
    .language_version:
      - 2
      - 0
    .max_flat_workgroup_size: 119
    .name:           fft_rtc_back_len1904_factors_17_2_2_7_4_wgs_119_tpt_119_halfLds_half_op_CI_CI_unitstride_sbrr_R2C_dirReg
    .private_segment_fixed_size: 0
    .sgpr_count:     36
    .sgpr_spill_count: 0
    .symbol:         fft_rtc_back_len1904_factors_17_2_2_7_4_wgs_119_tpt_119_halfLds_half_op_CI_CI_unitstride_sbrr_R2C_dirReg.kd
    .uniform_work_group_size: 1
    .uses_dynamic_stack: false
    .vgpr_count:     171
    .vgpr_spill_count: 0
    .wavefront_size: 64
amdhsa.target:   amdgcn-amd-amdhsa--gfx950
amdhsa.version:
  - 1
  - 2
...

	.end_amdgpu_metadata
